;; amdgpu-corpus repo=ROCm/rocFFT kind=compiled arch=gfx950 opt=O3
	.text
	.amdgcn_target "amdgcn-amd-amdhsa--gfx950"
	.amdhsa_code_object_version 6
	.protected	bluestein_single_back_len1365_dim1_dp_op_CI_CI ; -- Begin function bluestein_single_back_len1365_dim1_dp_op_CI_CI
	.globl	bluestein_single_back_len1365_dim1_dp_op_CI_CI
	.p2align	8
	.type	bluestein_single_back_len1365_dim1_dp_op_CI_CI,@function
bluestein_single_back_len1365_dim1_dp_op_CI_CI: ; @bluestein_single_back_len1365_dim1_dp_op_CI_CI
; %bb.0:
	s_load_dwordx4 s[12:15], s[0:1], 0x28
	v_mul_u32_u24_e32 v1, 0x2d1, v0
	v_lshrrev_b32_e32 v20, 16, v1
	v_mov_b32_e32 v189, 0
	v_lshl_add_u32 v6, s2, 1, v20
	v_mov_b32_e32 v7, v189
	s_waitcnt lgkmcnt(0)
	v_cmp_gt_u64_e32 vcc, s[12:13], v[6:7]
	s_and_saveexec_b64 s[2:3], vcc
	s_cbranch_execz .LBB0_23
; %bb.1:
	s_load_dwordx4 s[4:7], s[0:1], 0x18
	s_load_dwordx2 s[12:13], s[0:1], 0x0
	v_mul_lo_u16_e32 v1, 0x5b, v20
	v_sub_u16_e32 v188, v0, v1
	v_accvgpr_write_b32 a4, v6
	s_waitcnt lgkmcnt(0)
	s_load_dwordx4 s[8:11], s[4:5], 0x0
	v_mov_b32_e32 v2, s14
	v_mov_b32_e32 v3, s15
	v_lshlrev_b32_e32 v16, 4, v188
	global_load_dwordx4 v[70:73], v16, s[12:13]
	s_waitcnt lgkmcnt(0)
	v_mad_u64_u32 v[0:1], s[2:3], s10, v6, 0
	v_mov_b32_e32 v4, v1
	v_mad_u64_u32 v[4:5], s[2:3], s11, v6, v[4:5]
	v_mov_b32_e32 v1, v4
	;; [unrolled: 2-line block ×3, first 2 shown]
	v_mad_u64_u32 v[6:7], s[2:3], s9, v188, v[6:7]
	s_mul_i32 s2, s9, 0x69
	s_mul_hi_u32 s3, s8, 0x69
	v_mov_b32_e32 v5, v6
	v_lshl_add_u64 v[0:1], v[0:1], 4, v[2:3]
	s_add_i32 s3, s3, s2
	s_mul_i32 s2, s8, 0x69
	v_lshl_add_u64 v[0:1], v[4:5], 4, v[0:1]
	s_lshl_b64 s[14:15], s[2:3], 4
	global_load_dwordx4 v[4:7], v[0:1], off
	v_lshl_add_u64 v[8:9], v[0:1], 0, s[14:15]
	global_load_dwordx4 v[0:3], v[8:9], off
	global_load_dwordx4 v[86:89], v16, s[12:13] offset:1680
	v_mov_b32_e32 v17, v189
	v_lshl_add_u64 v[18:19], v[8:9], 0, s[14:15]
	global_load_dwordx4 v[74:77], v16, s[12:13] offset:3360
	v_lshl_add_u64 v[30:31], s[12:13], 0, v[16:17]
	v_lshl_add_u64 v[22:23], v[18:19], 0, s[14:15]
	global_load_dwordx4 v[12:15], v[18:19], off
	global_load_dwordx4 v[8:11], v[22:23], off
	s_movk_i32 s2, 0x1000
	v_add_co_u32_e32 v32, vcc, s2, v30
	s_movk_i32 s2, 0x2000
	s_nop 0
	v_addc_co_u32_e32 v33, vcc, 0, v31, vcc
	v_lshl_add_u64 v[18:19], v[22:23], 0, s[14:15]
	global_load_dwordx4 v[118:121], v[32:33], off offset:944
	global_load_dwordx4 v[22:25], v[18:19], off
	global_load_dwordx4 v[78:81], v[32:33], off offset:2624
	v_add_co_u32_e32 v34, vcc, s2, v30
	v_lshl_add_u64 v[18:19], v[18:19], 0, s[14:15]
	s_nop 0
	v_addc_co_u32_e32 v35, vcc, 0, v31, vcc
	global_load_dwordx4 v[26:29], v[18:19], off
	global_load_dwordx4 v[94:97], v[34:35], off offset:208
	v_lshl_add_u64 v[18:19], v[18:19], 0, s[14:15]
	global_load_dwordx4 v[40:43], v[18:19], off
	global_load_dwordx4 v[82:85], v[34:35], off offset:1888
	v_lshl_add_u64 v[18:19], v[18:19], 0, s[14:15]
	;; [unrolled: 3-line block ×3, first 2 shown]
	s_movk_i32 s2, 0x3000
	global_load_dwordx4 v[48:51], v[18:19], off
	v_add_co_u32_e32 v38, vcc, s2, v30
	s_movk_i32 s2, 0x4000
	s_nop 0
	v_addc_co_u32_e32 v39, vcc, 0, v31, vcc
	v_lshl_add_u64 v[18:19], v[18:19], 0, s[14:15]
	global_load_dwordx4 v[114:117], v[38:39], off offset:1152
	global_load_dwordx4 v[52:55], v[18:19], off
	global_load_dwordx4 v[106:109], v[38:39], off offset:2832
	v_add_co_u32_e32 v36, vcc, s2, v30
	v_lshl_add_u64 v[18:19], v[18:19], 0, s[14:15]
	s_nop 0
	v_addc_co_u32_e32 v37, vcc, 0, v31, vcc
	global_load_dwordx4 v[56:59], v[18:19], off
	global_load_dwordx4 v[98:101], v[36:37], off offset:416
	v_lshl_add_u64 v[18:19], v[18:19], 0, s[14:15]
	global_load_dwordx4 v[60:63], v[18:19], off
	global_load_dwordx4 v[102:105], v[36:37], off offset:2096
	v_lshl_add_u64 v[18:19], v[18:19], 0, s[14:15]
	global_load_dwordx4 v[110:113], v[36:37], off offset:3776
	global_load_dwordx4 v[64:67], v[18:19], off
	v_and_b32_e32 v17, 1, v20
	v_mov_b32_e32 v20, 0x555
	v_cmp_eq_u32_e32 vcc, 1, v17
	s_load_dwordx2 s[10:11], s[0:1], 0x38
	v_accvgpr_write_b32 a0, v30
	v_cndmask_b32_e32 v17, 0, v20, vcc
	v_lshlrev_b32_e32 v177, 4, v17
	v_add_u32_e32 v176, v177, v16
	s_load_dwordx4 s[4:7], s[6:7], 0x0
	v_accvgpr_write_b32 a1, v31
	v_cmp_gt_u16_e32 vcc, 14, v188
	s_waitcnt vmcnt(25)
	v_accvgpr_write_b32 a6, v70
	v_accvgpr_write_b32 a7, v71
	;; [unrolled: 1-line block ×4, first 2 shown]
	s_waitcnt vmcnt(24)
	v_mul_f64 v[68:69], v[6:7], v[72:73]
	v_mul_f64 v[16:17], v[4:5], v[72:73]
	v_fmac_f64_e32 v[68:69], v[4:5], v[70:71]
	s_waitcnt vmcnt(22)
	v_mul_f64 v[4:5], v[2:3], v[88:89]
	v_fmac_f64_e32 v[4:5], v[0:1], v[86:87]
	v_mul_f64 v[0:1], v[0:1], v[88:89]
	v_fma_f64 v[70:71], v[6:7], v[70:71], -v[16:17]
	v_fma_f64 v[6:7], v[2:3], v[86:87], -v[0:1]
	s_waitcnt vmcnt(20)
	v_mul_f64 v[0:1], v[14:15], v[76:77]
	v_mul_f64 v[2:3], v[12:13], v[76:77]
	v_fmac_f64_e32 v[0:1], v[12:13], v[74:75]
	v_fma_f64 v[2:3], v[14:15], v[74:75], -v[2:3]
	ds_write_b128 v176, v[0:3] offset:3360
	v_accvgpr_write_b32 a22, v86
	s_waitcnt vmcnt(18)
	v_mul_f64 v[0:1], v[10:11], v[120:121]
	v_mul_f64 v[2:3], v[8:9], v[120:121]
	v_fmac_f64_e32 v[0:1], v[8:9], v[118:119]
	v_fma_f64 v[2:3], v[10:11], v[118:119], -v[2:3]
	ds_write_b128 v176, v[0:3] offset:5040
	s_waitcnt vmcnt(16)
	v_mul_f64 v[0:1], v[24:25], v[80:81]
	v_mul_f64 v[2:3], v[22:23], v[80:81]
	v_fmac_f64_e32 v[0:1], v[22:23], v[78:79]
	v_fma_f64 v[2:3], v[24:25], v[78:79], -v[2:3]
	ds_write_b128 v176, v[0:3] offset:6720
	;; [unrolled: 6-line block ×8, first 2 shown]
	s_waitcnt vmcnt(2)
	v_mul_f64 v[0:1], v[62:63], v[104:105]
	v_mul_f64 v[2:3], v[60:61], v[104:105]
	v_fmac_f64_e32 v[0:1], v[60:61], v[102:103]
	v_fma_f64 v[2:3], v[62:63], v[102:103], -v[2:3]
	v_accvgpr_write_b32 a10, v74
	v_accvgpr_write_b32 a54, v118
	;; [unrolled: 1-line block ×10, first 2 shown]
	ds_write_b128 v176, v[0:3] offset:18480
	s_waitcnt vmcnt(0)
	v_mul_f64 v[0:1], v[66:67], v[112:113]
	v_mul_f64 v[2:3], v[64:65], v[112:113]
	v_accvgpr_write_b32 a46, v110
	v_accvgpr_write_b32 a23, v87
	v_accvgpr_write_b32 a24, v88
	v_accvgpr_write_b32 a25, v89
	v_accvgpr_write_b32 a11, v75
	v_accvgpr_write_b32 a12, v76
	v_accvgpr_write_b32 a13, v77
	v_accvgpr_write_b32 a55, v119
	v_accvgpr_write_b32 a56, v120
	v_accvgpr_write_b32 a57, v121
	v_accvgpr_write_b32 a15, v79
	v_accvgpr_write_b32 a16, v80
	v_accvgpr_write_b32 a17, v81
	v_accvgpr_write_b32 a31, v95
	v_accvgpr_write_b32 a32, v96
	v_accvgpr_write_b32 a33, v97
	v_accvgpr_write_b32 a19, v83
	v_accvgpr_write_b32 a20, v84
	v_accvgpr_write_b32 a21, v85
	v_accvgpr_write_b32 a27, v91
	v_accvgpr_write_b32 a28, v92
	v_accvgpr_write_b32 a29, v93
	v_accvgpr_write_b32 a51, v115
	v_accvgpr_write_b32 a52, v116
	v_accvgpr_write_b32 a53, v117
	v_accvgpr_write_b32 a43, v107
	v_accvgpr_write_b32 a44, v108
	v_accvgpr_write_b32 a45, v109
	v_accvgpr_write_b32 a35, v99
	v_accvgpr_write_b32 a36, v100
	v_accvgpr_write_b32 a37, v101
	v_accvgpr_write_b32 a39, v103
	v_accvgpr_write_b32 a40, v104
	v_accvgpr_write_b32 a41, v105
	v_fmac_f64_e32 v[0:1], v[64:65], v[110:111]
	v_accvgpr_write_b32 a47, v111
	v_accvgpr_write_b32 a48, v112
	;; [unrolled: 1-line block ×3, first 2 shown]
	v_fma_f64 v[2:3], v[66:67], v[110:111], -v[2:3]
	ds_write_b128 v176, v[68:71]
	ds_write_b128 v176, v[4:7] offset:1680
	ds_write_b128 v176, v[0:3] offset:20160
	s_and_saveexec_b64 s[16:17], vcc
	s_cbranch_execz .LBB0_3
; %bb.2:
	v_mov_b32_e32 v0, 0xffffb6f0
	v_mad_u64_u32 v[8:9], s[2:3], s8, v0, v[18:19]
	s_mul_i32 s2, s9, 0xffffb6f0
	s_sub_i32 s2, s2, s8
	v_accvgpr_read_b32 v97, a1
	v_add_u32_e32 v9, s2, v9
	v_accvgpr_read_b32 v96, a0
	global_load_dwordx4 v[0:3], v[8:9], off
	global_load_dwordx4 v[4:7], v[96:97], off offset:1456
	v_lshl_add_u64 v[16:17], v[8:9], 0, s[14:15]
	global_load_dwordx4 v[8:11], v[16:17], off
	global_load_dwordx4 v[12:15], v[96:97], off offset:3136
	v_lshl_add_u64 v[28:29], v[16:17], 0, s[14:15]
	v_lshl_add_u64 v[40:41], v[28:29], 0, s[14:15]
	global_load_dwordx4 v[16:19], v[28:29], off
	global_load_dwordx4 v[20:23], v[32:33], off offset:720
	global_load_dwordx4 v[24:27], v[32:33], off offset:2400
	v_lshl_add_u64 v[52:53], v[40:41], 0, s[14:15]
	global_load_dwordx4 v[28:31], v[40:41], off
	s_nop 0
	global_load_dwordx4 v[40:43], v[52:53], off
	global_load_dwordx4 v[44:47], v[32:33], off offset:4080
	global_load_dwordx4 v[48:51], v[34:35], off offset:1664
	v_lshl_add_u64 v[32:33], v[52:53], 0, s[14:15]
	global_load_dwordx4 v[52:55], v[32:33], off
	v_lshl_add_u64 v[32:33], v[32:33], 0, s[14:15]
	v_lshl_add_u64 v[68:69], v[32:33], 0, s[14:15]
	global_load_dwordx4 v[56:59], v[32:33], off
	global_load_dwordx4 v[60:63], v[34:35], off offset:3344
	global_load_dwordx4 v[64:67], v[38:39], off offset:928
	v_lshl_add_u64 v[80:81], v[68:69], 0, s[14:15]
	global_load_dwordx4 v[32:35], v[68:69], off
	s_nop 0
	global_load_dwordx4 v[68:71], v[80:81], off
	global_load_dwordx4 v[72:75], v[38:39], off offset:2608
	global_load_dwordx4 v[76:79], v[36:37], off offset:192
	v_lshl_add_u64 v[88:89], v[80:81], 0, s[14:15]
	v_lshl_add_u64 v[92:93], v[88:89], 0, s[14:15]
	global_load_dwordx4 v[80:83], v[88:89], off
	global_load_dwordx4 v[84:87], v[36:37], off offset:1872
	s_nop 0
	global_load_dwordx4 v[36:39], v[36:37], off offset:3552
	s_movk_i32 s2, 0x5000
	global_load_dwordx4 v[88:91], v[92:93], off
	v_lshl_add_u64 v[100:101], v[92:93], 0, s[14:15]
	global_load_dwordx4 v[92:95], v[100:101], off
	v_add_co_u32_e64 v96, s[2:3], s2, v96
	v_lshl_add_u64 v[100:101], v[100:101], 0, s[14:15]
	s_nop 0
	v_addc_co_u32_e64 v97, s[2:3], 0, v97, s[2:3]
	global_load_dwordx4 v[96:99], v[96:97], off offset:1136
	s_waitcnt vmcnt(23)
	v_mul_f64 v[104:105], v[2:3], v[6:7]
	global_load_dwordx4 v[100:103], v[100:101], off
	v_mul_f64 v[6:7], v[0:1], v[6:7]
	v_fmac_f64_e32 v[104:105], v[0:1], v[4:5]
	v_fma_f64 v[106:107], v[2:3], v[4:5], -v[6:7]
	s_waitcnt vmcnt(22)
	v_mul_f64 v[0:1], v[10:11], v[14:15]
	v_mul_f64 v[2:3], v[8:9], v[14:15]
	v_fmac_f64_e32 v[0:1], v[8:9], v[12:13]
	v_fma_f64 v[2:3], v[10:11], v[12:13], -v[2:3]
	ds_write_b128 v176, v[0:3] offset:3136
	s_waitcnt vmcnt(18)
	v_mul_f64 v[0:1], v[30:31], v[26:27]
	v_mul_f64 v[2:3], v[28:29], v[26:27]
	v_fmac_f64_e32 v[0:1], v[28:29], v[24:25]
	v_fma_f64 v[2:3], v[30:31], v[24:25], -v[2:3]
	ds_write_b128 v176, v[0:3] offset:6496
	;; [unrolled: 6-line block ×3, first 2 shown]
	s_waitcnt vmcnt(10)
	v_mul_f64 v[0:1], v[34:35], v[66:67]
	v_mul_f64 v[2:3], v[32:33], v[66:67]
	v_fmac_f64_e32 v[0:1], v[32:33], v[64:65]
	v_fma_f64 v[2:3], v[34:35], v[64:65], -v[2:3]
	v_mul_f64 v[4:5], v[18:19], v[22:23]
	v_mul_f64 v[6:7], v[16:17], v[22:23]
	ds_write_b128 v176, v[0:3] offset:13216
	s_waitcnt vmcnt(6)
	v_mul_f64 v[0:1], v[82:83], v[78:79]
	v_mul_f64 v[2:3], v[80:81], v[78:79]
	v_fmac_f64_e32 v[4:5], v[16:17], v[20:21]
	v_fma_f64 v[6:7], v[18:19], v[20:21], -v[6:7]
	v_fmac_f64_e32 v[0:1], v[80:81], v[76:77]
	v_fma_f64 v[2:3], v[82:83], v[76:77], -v[2:3]
	ds_write_b128 v176, v[4:7] offset:4816
	v_mul_f64 v[4:5], v[42:43], v[46:47]
	v_mul_f64 v[6:7], v[40:41], v[46:47]
	ds_write_b128 v176, v[0:3] offset:16576
	s_waitcnt vmcnt(3)
	v_mul_f64 v[0:1], v[90:91], v[86:87]
	v_mul_f64 v[2:3], v[88:89], v[86:87]
	v_fmac_f64_e32 v[4:5], v[40:41], v[44:45]
	v_fma_f64 v[6:7], v[42:43], v[44:45], -v[6:7]
	v_fmac_f64_e32 v[0:1], v[88:89], v[84:85]
	v_fma_f64 v[2:3], v[90:91], v[84:85], -v[2:3]
	ds_write_b128 v176, v[4:7] offset:8176
	;; [unrolled: 11-line block ×3, first 2 shown]
	v_mul_f64 v[4:5], v[70:71], v[74:75]
	v_mul_f64 v[6:7], v[68:69], v[74:75]
	ds_write_b128 v176, v[0:3] offset:19936
	v_fmac_f64_e32 v[4:5], v[68:69], v[72:73]
	v_fma_f64 v[6:7], v[70:71], v[72:73], -v[6:7]
	ds_write_b128 v176, v[104:107] offset:1456
	ds_write_b128 v176, v[4:7] offset:14896
	s_waitcnt vmcnt(0)
	v_mul_f64 v[0:1], v[102:103], v[98:99]
	v_mul_f64 v[2:3], v[100:101], v[98:99]
	v_fmac_f64_e32 v[0:1], v[100:101], v[96:97]
	v_fma_f64 v[2:3], v[102:103], v[96:97], -v[2:3]
	ds_write_b128 v176, v[0:3] offset:21616
.LBB0_3:
	s_or_b64 exec, exec, s[16:17]
	s_waitcnt lgkmcnt(0)
	s_barrier
	ds_read_b128 v[40:43], v176
	ds_read_b128 v[48:51], v176 offset:1680
	ds_read_b128 v[36:39], v176 offset:3360
	;; [unrolled: 1-line block ×12, first 2 shown]
                                        ; implicit-def: $vgpr72_vgpr73
                                        ; implicit-def: $vgpr76_vgpr77
                                        ; implicit-def: $vgpr80_vgpr81
                                        ; implicit-def: $vgpr84_vgpr85
                                        ; implicit-def: $vgpr88_vgpr89
                                        ; implicit-def: $vgpr92_vgpr93
                                        ; implicit-def: $vgpr96_vgpr97
                                        ; implicit-def: $vgpr100_vgpr101
                                        ; implicit-def: $vgpr104_vgpr105
                                        ; implicit-def: $vgpr108_vgpr109
                                        ; implicit-def: $vgpr112_vgpr113
                                        ; implicit-def: $vgpr116_vgpr117
                                        ; implicit-def: $vgpr120_vgpr121
	s_and_saveexec_b64 s[2:3], vcc
	s_cbranch_execz .LBB0_5
; %bb.4:
	ds_read_b128 v[72:75], v176 offset:1456
	ds_read_b128 v[76:79], v176 offset:3136
	;; [unrolled: 1-line block ×13, first 2 shown]
.LBB0_5:
	s_or_b64 exec, exec, s[2:3]
	s_waitcnt lgkmcnt(11)
	v_add_f64 v[0:1], v[40:41], v[48:49]
	v_add_f64 v[2:3], v[42:43], v[50:51]
	s_waitcnt lgkmcnt(10)
	v_add_f64 v[0:1], v[0:1], v[36:37]
	v_add_f64 v[2:3], v[2:3], v[38:39]
	;; [unrolled: 3-line block ×8, first 2 shown]
	s_waitcnt lgkmcnt(3)
	v_add_f64 v[0:1], v[0:1], v[24:25]
	s_load_dwordx2 s[8:9], s[0:1], 0x8
	s_mov_b64 s[0:1], 0x5b
	v_add_f64 v[2:3], v[2:3], v[26:27]
	s_waitcnt lgkmcnt(0)
	v_add_f64 v[0:1], v[0:1], v[32:33]
	s_mov_b32 s46, 0x4267c47c
	s_mov_b32 s30, 0x42a4c3d2
	;; [unrolled: 1-line block ×6, first 2 shown]
	v_lshl_add_u64 v[184:185], v[188:189], 0, s[0:1]
	v_add_f64 v[2:3], v[2:3], v[34:35]
	v_add_f64 v[0:1], v[0:1], v[44:45]
	;; [unrolled: 1-line block ×3, first 2 shown]
	v_add_f64 v[50:51], v[50:51], -v[54:55]
	s_mov_b32 s47, 0xbfddbe06
	s_mov_b32 s20, 0xe00740e9
	;; [unrolled: 1-line block ×12, first 2 shown]
	v_add_f64 v[2:3], v[2:3], v[46:47]
	v_add_f64 v[0:1], v[0:1], v[52:53]
	;; [unrolled: 1-line block ×3, first 2 shown]
	v_add_f64 v[48:49], v[48:49], -v[52:53]
	v_mul_f64 v[52:53], v[50:51], s[46:47]
	s_mov_b32 s21, 0x3fec55a7
	v_mul_f64 v[64:65], v[50:51], s[30:31]
	s_mov_b32 s15, 0x3fe22d96
	v_mul_f64 v[124:125], v[50:51], s[38:39]
	s_mov_b32 s1, 0x3fbedb7d
	v_mul_f64 v[132:133], v[50:51], s[16:17]
	s_mov_b32 s3, 0xbfd6b1d8
	v_mul_f64 v[140:141], v[50:51], s[24:25]
	s_mov_b32 s23, 0xbfe7f3cc
	v_mul_f64 v[50:51], v[50:51], s[28:29]
	s_mov_b32 s27, 0xbfef11f4
	v_add_f64 v[2:3], v[2:3], v[54:55]
	v_fma_f64 v[54:55], v[56:57], s[20:21], -v[52:53]
	v_mul_f64 v[60:61], v[48:49], s[46:47]
	v_fmac_f64_e32 v[52:53], s[20:21], v[56:57]
	v_fma_f64 v[66:67], v[56:57], s[14:15], -v[64:65]
	v_mul_f64 v[68:69], v[48:49], s[30:31]
	v_fmac_f64_e32 v[64:65], s[14:15], v[56:57]
	;; [unrolled: 3-line block ×6, first 2 shown]
	v_add_f64 v[54:55], v[40:41], v[54:55]
	v_fma_f64 v[62:63], s[20:21], v[58:59], v[60:61]
	v_add_f64 v[52:53], v[40:41], v[52:53]
	v_fma_f64 v[60:61], v[58:59], s[20:21], -v[60:61]
	v_add_f64 v[66:67], v[40:41], v[66:67]
	v_fma_f64 v[70:71], s[14:15], v[58:59], v[68:69]
	v_add_f64 v[64:65], v[40:41], v[64:65]
	v_fma_f64 v[68:69], v[58:59], s[14:15], -v[68:69]
	;; [unrolled: 4-line block ×6, first 2 shown]
	v_add_f64 v[50:51], v[38:39], v[46:47]
	v_add_f64 v[38:39], v[38:39], -v[46:47]
	v_add_f64 v[62:63], v[42:43], v[62:63]
	v_add_f64 v[60:61], v[42:43], v[60:61]
	;; [unrolled: 1-line block ×13, first 2 shown]
	v_add_f64 v[36:37], v[36:37], -v[44:45]
	v_mul_f64 v[44:45], v[38:39], s[30:31]
	v_fma_f64 v[46:47], v[48:49], s[14:15], -v[44:45]
	v_add_f64 v[46:47], v[46:47], v[54:55]
	v_mul_f64 v[54:55], v[36:37], s[30:31]
	v_fmac_f64_e32 v[44:45], s[14:15], v[48:49]
	v_fma_f64 v[56:57], s[14:15], v[50:51], v[54:55]
	v_add_f64 v[44:45], v[44:45], v[52:53]
	v_fma_f64 v[52:53], v[50:51], s[14:15], -v[54:55]
	v_mul_f64 v[54:55], v[38:39], s[16:17]
	v_add_f64 v[52:53], v[52:53], v[60:61]
	v_fma_f64 v[58:59], v[48:49], s[2:3], -v[54:55]
	v_mul_f64 v[60:61], v[36:37], s[16:17]
	v_fmac_f64_e32 v[54:55], s[2:3], v[48:49]
	v_add_f64 v[56:57], v[56:57], v[62:63]
	v_fma_f64 v[62:63], s[2:3], v[50:51], v[60:61]
	v_add_f64 v[54:55], v[54:55], v[64:65]
	v_fma_f64 v[60:61], v[50:51], s[2:3], -v[60:61]
	v_mul_f64 v[64:65], v[38:39], s[28:29]
	v_add_f64 v[58:59], v[58:59], v[66:67]
	v_add_f64 v[60:61], v[60:61], v[68:69]
	v_fma_f64 v[66:67], v[48:49], s[26:27], -v[64:65]
	v_mul_f64 v[68:69], v[36:37], s[28:29]
	v_fmac_f64_e32 v[64:65], s[26:27], v[48:49]
	s_mov_b32 s41, 0x3fe5384d
	s_mov_b32 s40, s24
	v_add_f64 v[62:63], v[62:63], v[70:71]
	v_fma_f64 v[70:71], s[26:27], v[50:51], v[68:69]
	v_add_f64 v[64:65], v[64:65], v[124:125]
	v_fma_f64 v[68:69], v[50:51], s[26:27], -v[68:69]
	v_mul_f64 v[124:125], v[38:39], s[40:41]
	v_add_f64 v[66:67], v[66:67], v[126:127]
	v_add_f64 v[68:69], v[68:69], v[128:129]
	v_fma_f64 v[126:127], v[48:49], s[22:23], -v[124:125]
	v_mul_f64 v[128:129], v[36:37], s[40:41]
	v_fmac_f64_e32 v[124:125], s[22:23], v[48:49]
	s_mov_b32 s19, 0x3fefc445
	s_mov_b32 s18, s38
	v_add_f64 v[70:71], v[70:71], v[130:131]
	v_fma_f64 v[130:131], s[22:23], v[50:51], v[128:129]
	v_add_f64 v[124:125], v[124:125], v[132:133]
	v_fma_f64 v[128:129], v[50:51], s[22:23], -v[128:129]
	v_mul_f64 v[132:133], v[38:39], s[18:19]
	s_mov_b32 s35, 0x3fddbe06
	s_mov_b32 s34, s46
	v_add_f64 v[126:127], v[126:127], v[134:135]
	v_add_f64 v[128:129], v[128:129], v[136:137]
	v_fma_f64 v[134:135], v[48:49], s[0:1], -v[132:133]
	v_mul_f64 v[136:137], v[36:37], s[18:19]
	v_mul_f64 v[36:37], v[36:37], s[34:35]
	v_add_f64 v[134:135], v[134:135], v[142:143]
	v_fmac_f64_e32 v[132:133], s[0:1], v[48:49]
	v_mul_f64 v[38:39], v[38:39], s[34:35]
	v_fma_f64 v[142:143], s[20:21], v[50:51], v[36:37]
	v_fma_f64 v[36:37], v[50:51], s[20:21], -v[36:37]
	v_add_f64 v[132:133], v[132:133], v[140:141]
	v_fma_f64 v[140:141], v[48:49], s[20:21], -v[38:39]
	v_fmac_f64_e32 v[38:39], s[20:21], v[48:49]
	v_add_f64 v[36:37], v[36:37], v[42:43]
	v_add_f64 v[42:43], v[30:31], v[34:35]
	v_add_f64 v[30:31], v[30:31], -v[34:35]
	v_add_f64 v[38:39], v[38:39], v[40:41]
	v_add_f64 v[40:41], v[28:29], v[32:33]
	v_add_f64 v[28:29], v[28:29], -v[32:33]
	v_mul_f64 v[32:33], v[30:31], s[38:39]
	v_fma_f64 v[34:35], v[40:41], s[0:1], -v[32:33]
	v_add_f64 v[34:35], v[34:35], v[46:47]
	v_mul_f64 v[46:47], v[28:29], s[38:39]
	v_fmac_f64_e32 v[32:33], s[0:1], v[40:41]
	v_fma_f64 v[48:49], s[0:1], v[42:43], v[46:47]
	v_add_f64 v[32:33], v[32:33], v[44:45]
	v_fma_f64 v[44:45], v[42:43], s[0:1], -v[46:47]
	v_mul_f64 v[46:47], v[30:31], s[28:29]
	v_add_f64 v[130:131], v[130:131], v[138:139]
	v_fma_f64 v[138:139], s[0:1], v[50:51], v[136:137]
	v_fma_f64 v[136:137], v[50:51], s[0:1], -v[136:137]
	v_fma_f64 v[50:51], v[40:41], s[26:27], -v[46:47]
	v_fmac_f64_e32 v[46:47], s[26:27], v[40:41]
	s_mov_b32 s45, 0x3fedeba7
	s_mov_b32 s44, s16
	v_add_f64 v[44:45], v[44:45], v[52:53]
	v_mul_f64 v[52:53], v[28:29], s[28:29]
	v_add_f64 v[46:47], v[46:47], v[54:55]
	v_mul_f64 v[54:55], v[30:31], s[44:45]
	v_add_f64 v[48:49], v[48:49], v[56:57]
	v_add_f64 v[50:51], v[50:51], v[58:59]
	v_fma_f64 v[56:57], s[26:27], v[42:43], v[52:53]
	v_fma_f64 v[52:53], v[42:43], s[26:27], -v[52:53]
	v_fma_f64 v[58:59], v[40:41], s[2:3], -v[54:55]
	v_fmac_f64_e32 v[54:55], s[2:3], v[40:41]
	v_add_f64 v[52:53], v[52:53], v[60:61]
	v_mul_f64 v[60:61], v[28:29], s[44:45]
	v_add_f64 v[54:55], v[54:55], v[64:65]
	v_mul_f64 v[64:65], v[30:31], s[34:35]
	v_add_f64 v[56:57], v[56:57], v[62:63]
	v_add_f64 v[58:59], v[58:59], v[66:67]
	v_fma_f64 v[62:63], s[2:3], v[42:43], v[60:61]
	v_fma_f64 v[60:61], v[42:43], s[2:3], -v[60:61]
	v_fma_f64 v[66:67], v[40:41], s[20:21], -v[64:65]
	v_fmac_f64_e32 v[64:65], s[20:21], v[40:41]
	;; [unrolled: 10-line block ×3, first 2 shown]
	v_mul_f64 v[30:31], v[30:31], s[24:25]
	v_add_f64 v[68:69], v[68:69], v[128:129]
	v_mul_f64 v[128:129], v[28:29], s[30:31]
	v_add_f64 v[124:125], v[124:125], v[132:133]
	v_fma_f64 v[132:133], v[40:41], s[22:23], -v[30:31]
	v_mul_f64 v[28:29], v[28:29], s[24:25]
	v_fmac_f64_e32 v[30:31], s[22:23], v[40:41]
	v_add_f64 v[126:127], v[126:127], v[134:135]
	v_fma_f64 v[134:135], s[22:23], v[42:43], v[28:29]
	v_add_f64 v[30:31], v[30:31], v[38:39]
	v_fma_f64 v[28:29], v[42:43], s[22:23], -v[28:29]
	v_add_f64 v[38:39], v[22:23], v[26:27]
	v_add_f64 v[22:23], v[22:23], -v[26:27]
	v_add_f64 v[28:29], v[28:29], v[36:37]
	v_add_f64 v[36:37], v[20:21], v[24:25]
	v_add_f64 v[20:21], v[20:21], -v[24:25]
	v_mul_f64 v[24:25], v[22:23], s[16:17]
	v_fma_f64 v[26:27], v[36:37], s[2:3], -v[24:25]
	v_add_f64 v[26:27], v[26:27], v[34:35]
	v_mul_f64 v[34:35], v[20:21], s[16:17]
	v_fmac_f64_e32 v[24:25], s[2:3], v[36:37]
	v_fma_f64 v[40:41], s[2:3], v[38:39], v[34:35]
	v_add_f64 v[24:25], v[24:25], v[32:33]
	v_fma_f64 v[32:33], v[38:39], s[2:3], -v[34:35]
	v_mul_f64 v[34:35], v[22:23], s[40:41]
	v_add_f64 v[70:71], v[70:71], v[130:131]
	v_fma_f64 v[130:131], s[14:15], v[42:43], v[128:129]
	v_fma_f64 v[128:129], v[42:43], s[14:15], -v[128:129]
	v_fma_f64 v[42:43], v[36:37], s[22:23], -v[34:35]
	v_fmac_f64_e32 v[34:35], s[22:23], v[36:37]
	v_add_f64 v[32:33], v[32:33], v[44:45]
	v_mul_f64 v[44:45], v[20:21], s[40:41]
	v_add_f64 v[34:35], v[34:35], v[46:47]
	v_mul_f64 v[46:47], v[22:23], s[34:35]
	v_add_f64 v[40:41], v[40:41], v[48:49]
	v_add_f64 v[42:43], v[42:43], v[50:51]
	v_fma_f64 v[48:49], s[22:23], v[38:39], v[44:45]
	v_fma_f64 v[44:45], v[38:39], s[22:23], -v[44:45]
	v_fma_f64 v[50:51], v[36:37], s[20:21], -v[46:47]
	v_fmac_f64_e32 v[46:47], s[20:21], v[36:37]
	v_add_f64 v[44:45], v[44:45], v[52:53]
	v_mul_f64 v[52:53], v[20:21], s[34:35]
	v_add_f64 v[46:47], v[46:47], v[54:55]
	v_mul_f64 v[54:55], v[22:23], s[38:39]
	v_add_f64 v[48:49], v[48:49], v[56:57]
	v_add_f64 v[50:51], v[50:51], v[58:59]
	v_fma_f64 v[56:57], s[20:21], v[38:39], v[52:53]
	v_fma_f64 v[52:53], v[38:39], s[20:21], -v[52:53]
	v_fma_f64 v[58:59], v[36:37], s[0:1], -v[54:55]
	v_fmac_f64_e32 v[54:55], s[0:1], v[36:37]
	s_mov_b32 s43, 0x3fcea1e5
	s_mov_b32 s42, s28
	v_add_f64 v[52:53], v[52:53], v[60:61]
	v_mul_f64 v[60:61], v[20:21], s[38:39]
	v_add_f64 v[54:55], v[54:55], v[64:65]
	v_mul_f64 v[64:65], v[22:23], s[42:43]
	s_mov_b32 s37, 0x3fea55e2
	s_mov_b32 s36, s30
	v_add_f64 v[56:57], v[56:57], v[62:63]
	v_add_f64 v[58:59], v[58:59], v[66:67]
	v_fma_f64 v[62:63], s[0:1], v[38:39], v[60:61]
	v_fma_f64 v[60:61], v[38:39], s[0:1], -v[60:61]
	v_fma_f64 v[66:67], v[36:37], s[26:27], -v[64:65]
	v_fmac_f64_e32 v[64:65], s[26:27], v[36:37]
	v_mul_f64 v[22:23], v[22:23], s[36:37]
	v_add_f64 v[60:61], v[60:61], v[68:69]
	v_mul_f64 v[68:69], v[20:21], s[42:43]
	v_add_f64 v[64:65], v[64:65], v[124:125]
	v_fma_f64 v[124:125], v[36:37], s[14:15], -v[22:23]
	v_mul_f64 v[20:21], v[20:21], s[36:37]
	v_fmac_f64_e32 v[22:23], s[14:15], v[36:37]
	v_add_f64 v[66:67], v[66:67], v[126:127]
	v_fma_f64 v[126:127], s[14:15], v[38:39], v[20:21]
	v_add_f64 v[22:23], v[22:23], v[30:31]
	v_fma_f64 v[20:21], v[38:39], s[14:15], -v[20:21]
	v_add_f64 v[30:31], v[14:15], v[18:19]
	v_add_f64 v[14:15], v[14:15], -v[18:19]
	v_add_f64 v[20:21], v[20:21], v[28:29]
	v_add_f64 v[28:29], v[12:13], v[16:17]
	v_add_f64 v[12:13], v[12:13], -v[16:17]
	v_mul_f64 v[16:17], v[14:15], s[24:25]
	v_fma_f64 v[18:19], v[28:29], s[22:23], -v[16:17]
	v_add_f64 v[18:19], v[18:19], v[26:27]
	v_mul_f64 v[26:27], v[12:13], s[24:25]
	v_fmac_f64_e32 v[16:17], s[22:23], v[28:29]
	v_fma_f64 v[36:37], s[22:23], v[30:31], v[26:27]
	v_add_f64 v[16:17], v[16:17], v[24:25]
	v_fma_f64 v[24:25], v[30:31], s[22:23], -v[26:27]
	v_mul_f64 v[26:27], v[14:15], s[18:19]
	v_add_f64 v[62:63], v[62:63], v[70:71]
	v_fma_f64 v[70:71], s[26:27], v[38:39], v[68:69]
	v_fma_f64 v[68:69], v[38:39], s[26:27], -v[68:69]
	v_add_f64 v[24:25], v[24:25], v[32:33]
	v_fma_f64 v[32:33], v[28:29], s[0:1], -v[26:27]
	v_mul_f64 v[38:39], v[12:13], s[18:19]
	v_fmac_f64_e32 v[26:27], s[0:1], v[28:29]
	v_add_f64 v[26:27], v[26:27], v[34:35]
	v_fma_f64 v[34:35], v[30:31], s[0:1], -v[38:39]
	v_add_f64 v[36:37], v[36:37], v[40:41]
	v_fma_f64 v[40:41], s[0:1], v[30:31], v[38:39]
	v_add_f64 v[34:35], v[34:35], v[44:45]
	v_mul_f64 v[44:45], v[12:13], s[30:31]
	v_add_f64 v[40:41], v[40:41], v[48:49]
	v_fma_f64 v[48:49], s[14:15], v[30:31], v[44:45]
	v_fma_f64 v[44:45], v[30:31], s[14:15], -v[44:45]
	v_mul_f64 v[38:39], v[14:15], s[30:31]
	v_add_f64 v[44:45], v[44:45], v[52:53]
	v_mul_f64 v[52:53], v[12:13], s[42:43]
	v_add_f64 v[138:139], v[138:139], v[146:147]
	v_add_f64 v[32:33], v[32:33], v[42:43]
	v_fma_f64 v[42:43], v[28:29], s[14:15], -v[38:39]
	v_add_f64 v[48:49], v[48:49], v[56:57]
	v_fmac_f64_e32 v[38:39], s[14:15], v[28:29]
	v_fma_f64 v[56:57], s[26:27], v[30:31], v[52:53]
	v_fma_f64 v[52:53], v[30:31], s[26:27], -v[52:53]
	v_add_f64 v[136:137], v[136:137], v[144:145]
	v_add_f64 v[130:131], v[130:131], v[138:139]
	;; [unrolled: 1-line block ×3, first 2 shown]
	v_mul_f64 v[46:47], v[14:15], s[42:43]
	v_add_f64 v[52:53], v[52:53], v[60:61]
	v_mul_f64 v[60:61], v[12:13], s[34:35]
	v_add_f64 v[128:129], v[128:129], v[136:137]
	v_add_f64 v[70:71], v[70:71], v[130:131]
	;; [unrolled: 1-line block ×3, first 2 shown]
	v_fma_f64 v[50:51], v[28:29], s[26:27], -v[46:47]
	v_add_f64 v[56:57], v[56:57], v[62:63]
	v_fmac_f64_e32 v[46:47], s[26:27], v[28:29]
	v_fma_f64 v[62:63], s[20:21], v[30:31], v[60:61]
	v_add_f64 v[140:141], v[140:141], v[148:149]
	v_add_f64 v[68:69], v[68:69], v[128:129]
	;; [unrolled: 1-line block ×3, first 2 shown]
	v_mul_f64 v[54:55], v[14:15], s[34:35]
	v_add_f64 v[62:63], v[62:63], v[70:71]
	v_fma_f64 v[60:61], v[30:31], s[20:21], -v[60:61]
	v_add_f64 v[70:71], v[6:7], v[10:11]
	v_add_f64 v[6:7], v[6:7], -v[10:11]
	v_add_f64 v[132:133], v[132:133], v[140:141]
	v_add_f64 v[50:51], v[50:51], v[58:59]
	v_fma_f64 v[58:59], v[28:29], s[20:21], -v[54:55]
	v_fmac_f64_e32 v[54:55], s[20:21], v[28:29]
	v_add_f64 v[60:61], v[60:61], v[68:69]
	v_mul_f64 v[14:15], v[14:15], s[16:17]
	v_add_f64 v[68:69], v[4:5], v[8:9]
	v_add_f64 v[4:5], v[4:5], -v[8:9]
	v_mul_f64 v[8:9], v[6:7], s[28:29]
	v_add_f64 v[142:143], v[142:143], v[150:151]
	v_add_f64 v[124:125], v[124:125], v[132:133]
	v_add_f64 v[54:55], v[54:55], v[64:65]
	v_fma_f64 v[64:65], v[28:29], s[2:3], -v[14:15]
	v_fma_f64 v[10:11], v[68:69], s[26:27], -v[8:9]
	v_add_f64 v[134:135], v[134:135], v[142:143]
	v_add_f64 v[64:65], v[64:65], v[124:125]
	v_mul_f64 v[12:13], v[12:13], s[16:17]
	v_add_f64 v[124:125], v[10:11], v[18:19]
	v_mul_f64 v[10:11], v[4:5], s[28:29]
	v_fmac_f64_e32 v[8:9], s[26:27], v[68:69]
	v_add_f64 v[126:127], v[126:127], v[134:135]
	v_add_f64 v[58:59], v[58:59], v[66:67]
	v_fma_f64 v[66:67], s[2:3], v[30:31], v[12:13]
	v_fma_f64 v[18:19], s[26:27], v[70:71], v[10:11]
	v_add_f64 v[16:17], v[8:9], v[16:17]
	v_fma_f64 v[8:9], v[70:71], s[26:27], -v[10:11]
	v_add_f64 v[66:67], v[66:67], v[126:127]
	v_add_f64 v[126:127], v[18:19], v[36:37]
	;; [unrolled: 1-line block ×3, first 2 shown]
	v_mul_f64 v[8:9], v[6:7], s[34:35]
	v_fma_f64 v[10:11], v[68:69], s[20:21], -v[8:9]
	v_fma_f64 v[12:13], v[30:31], s[2:3], -v[12:13]
	v_add_f64 v[132:133], v[10:11], v[32:33]
	v_mul_f64 v[10:11], v[4:5], s[34:35]
	v_add_f64 v[12:13], v[12:13], v[20:21]
	v_fma_f64 v[20:21], s[20:21], v[70:71], v[10:11]
	v_fmac_f64_e32 v[8:9], s[20:21], v[68:69]
	v_fmac_f64_e32 v[14:15], s[2:3], v[28:29]
	v_add_f64 v[134:135], v[20:21], v[40:41]
	v_add_f64 v[20:21], v[8:9], v[26:27]
	v_fma_f64 v[8:9], v[70:71], s[20:21], -v[10:11]
	v_add_f64 v[14:15], v[14:15], v[22:23]
	v_add_f64 v[22:23], v[8:9], v[34:35]
	v_mul_f64 v[8:9], v[6:7], s[24:25]
	v_fma_f64 v[10:11], v[68:69], s[22:23], -v[8:9]
	v_add_f64 v[136:137], v[10:11], v[42:43]
	v_mul_f64 v[10:11], v[4:5], s[24:25]
	v_fmac_f64_e32 v[8:9], s[22:23], v[68:69]
	v_add_f64 v[128:129], v[8:9], v[38:39]
	v_fma_f64 v[8:9], v[70:71], s[22:23], -v[10:11]
	v_add_f64 v[130:131], v[8:9], v[44:45]
	v_mul_f64 v[8:9], v[6:7], s[36:37]
	v_fma_f64 v[24:25], s[22:23], v[70:71], v[10:11]
	v_fma_f64 v[10:11], v[68:69], s[14:15], -v[8:9]
	v_add_f64 v[140:141], v[10:11], v[50:51]
	v_mul_f64 v[10:11], v[4:5], s[36:37]
	v_add_f64 v[138:139], v[24:25], v[48:49]
	v_fma_f64 v[24:25], s[14:15], v[70:71], v[10:11]
	v_fmac_f64_e32 v[8:9], s[14:15], v[68:69]
	v_add_f64 v[142:143], v[24:25], v[56:57]
	v_add_f64 v[24:25], v[8:9], v[46:47]
	v_fma_f64 v[8:9], v[70:71], s[14:15], -v[10:11]
	v_add_f64 v[26:27], v[8:9], v[52:53]
	v_mul_f64 v[8:9], v[6:7], s[16:17]
	v_fma_f64 v[10:11], v[68:69], s[2:3], -v[8:9]
	v_add_f64 v[152:153], v[10:11], v[58:59]
	v_mul_f64 v[10:11], v[4:5], s[16:17]
	v_fma_f64 v[28:29], s[2:3], v[70:71], v[10:11]
	v_fmac_f64_e32 v[8:9], s[2:3], v[68:69]
	v_add_f64 v[154:155], v[28:29], v[62:63]
	v_add_f64 v[28:29], v[8:9], v[54:55]
	v_fma_f64 v[8:9], v[70:71], s[2:3], -v[10:11]
	v_mul_f64 v[6:7], v[6:7], s[18:19]
	v_add_f64 v[30:31], v[8:9], v[60:61]
	v_fma_f64 v[8:9], v[68:69], s[0:1], -v[6:7]
	v_mul_f64 v[4:5], v[4:5], s[18:19]
	v_add_f64 v[156:157], v[8:9], v[64:65]
	v_fma_f64 v[8:9], s[0:1], v[70:71], v[4:5]
	v_add_f64 v[158:159], v[8:9], v[66:67]
	v_fmac_f64_e32 v[6:7], s[0:1], v[68:69]
	v_fma_f64 v[4:5], v[70:71], s[0:1], -v[4:5]
	v_add_f64 v[8:9], v[76:77], -v[120:121]
	v_add_f64 v[10:11], v[78:79], -v[122:123]
	v_add_f64 v[36:37], v[6:7], v[14:15]
	v_add_f64 v[38:39], v[4:5], v[12:13]
	v_add_f64 v[4:5], v[76:77], v[120:121]
	v_add_f64 v[6:7], v[78:79], v[122:123]
	v_mul_f64 v[12:13], v[10:11], s[46:47]
	v_mul_f64 v[32:33], v[8:9], s[46:47]
	;; [unrolled: 1-line block ×7, first 2 shown]
	v_add_f64 v[150:151], v[82:83], -v[118:119]
	v_fma_f64 v[14:15], v[4:5], s[20:21], -v[12:13]
	v_fma_f64 v[34:35], s[20:21], v[6:7], v[32:33]
	v_fma_f64 v[32:33], v[6:7], s[20:21], -v[32:33]
	v_mul_f64 v[40:41], v[10:11], s[30:31]
	v_fma_f64 v[46:47], s[14:15], v[6:7], v[44:45]
	v_fma_f64 v[44:45], v[6:7], s[14:15], -v[44:45]
	v_mul_f64 v[48:49], v[10:11], s[38:39]
	;; [unrolled: 3-line block ×5, first 2 shown]
	v_fma_f64 v[146:147], s[26:27], v[6:7], v[8:9]
	v_fma_f64 v[6:7], v[6:7], s[26:27], -v[8:9]
	v_add_f64 v[8:9], v[80:81], v[116:117]
	v_mul_f64 v[160:161], v[150:151], s[30:31]
	v_add_f64 v[14:15], v[72:73], v[14:15]
	v_fmac_f64_e32 v[12:13], s[20:21], v[4:5]
	v_fma_f64 v[144:145], v[4:5], s[26:27], -v[10:11]
	v_fmac_f64_e32 v[10:11], s[26:27], v[4:5]
	v_add_f64 v[148:149], v[80:81], -v[116:117]
	v_fma_f64 v[162:163], v[8:9], s[14:15], -v[160:161]
	v_add_f64 v[12:13], v[72:73], v[12:13]
	v_fma_f64 v[42:43], v[4:5], s[14:15], -v[40:41]
	v_fmac_f64_e32 v[40:41], s[14:15], v[4:5]
	v_fma_f64 v[50:51], v[4:5], s[0:1], -v[48:49]
	v_fmac_f64_e32 v[48:49], s[0:1], v[4:5]
	;; [unrolled: 2-line block ×4, first 2 shown]
	v_add_f64 v[4:5], v[72:73], v[10:11]
	v_add_f64 v[10:11], v[82:83], v[118:119]
	;; [unrolled: 1-line block ×3, first 2 shown]
	v_mul_f64 v[162:163], v[148:149], s[30:31]
	v_fmac_f64_e32 v[160:161], s[14:15], v[8:9]
	v_add_f64 v[32:33], v[74:75], v[32:33]
	v_add_f64 v[12:13], v[160:161], v[12:13]
	v_fma_f64 v[160:161], v[10:11], s[14:15], -v[162:163]
	v_add_f64 v[32:33], v[160:161], v[32:33]
	v_mul_f64 v[160:161], v[150:151], s[16:17]
	v_add_f64 v[42:43], v[72:73], v[42:43]
	v_fma_f64 v[164:165], s[14:15], v[10:11], v[162:163]
	v_fma_f64 v[162:163], v[8:9], s[2:3], -v[160:161]
	v_add_f64 v[40:41], v[72:73], v[40:41]
	v_add_f64 v[42:43], v[162:163], v[42:43]
	v_mul_f64 v[162:163], v[148:149], s[16:17]
	v_fmac_f64_e32 v[160:161], s[2:3], v[8:9]
	v_add_f64 v[44:45], v[74:75], v[44:45]
	v_add_f64 v[40:41], v[160:161], v[40:41]
	v_fma_f64 v[160:161], v[10:11], s[2:3], -v[162:163]
	v_add_f64 v[34:35], v[74:75], v[34:35]
	v_add_f64 v[44:45], v[160:161], v[44:45]
	v_mul_f64 v[160:161], v[150:151], s[28:29]
	v_add_f64 v[50:51], v[72:73], v[50:51]
	v_add_f64 v[34:35], v[164:165], v[34:35]
	v_fma_f64 v[164:165], s[2:3], v[10:11], v[162:163]
	v_fma_f64 v[162:163], v[8:9], s[26:27], -v[160:161]
	v_add_f64 v[48:49], v[72:73], v[48:49]
	v_add_f64 v[50:51], v[162:163], v[50:51]
	v_mul_f64 v[162:163], v[148:149], s[28:29]
	v_fmac_f64_e32 v[160:161], s[26:27], v[8:9]
	v_add_f64 v[52:53], v[74:75], v[52:53]
	v_add_f64 v[48:49], v[160:161], v[48:49]
	v_fma_f64 v[160:161], v[10:11], s[26:27], -v[162:163]
	v_add_f64 v[46:47], v[74:75], v[46:47]
	v_add_f64 v[52:53], v[160:161], v[52:53]
	v_mul_f64 v[160:161], v[150:151], s[40:41]
	v_add_f64 v[58:59], v[72:73], v[58:59]
	;; [unrolled: 14-line block ×3, first 2 shown]
	v_add_f64 v[54:55], v[164:165], v[54:55]
	v_fma_f64 v[164:165], s[22:23], v[10:11], v[162:163]
	v_fma_f64 v[162:163], v[8:9], s[0:1], -v[160:161]
	v_add_f64 v[64:65], v[72:73], v[64:65]
	v_add_f64 v[66:67], v[162:163], v[66:67]
	v_mul_f64 v[162:163], v[148:149], s[18:19]
	v_fmac_f64_e32 v[160:161], s[0:1], v[8:9]
	v_add_f64 v[68:69], v[74:75], v[68:69]
	v_add_f64 v[64:65], v[160:161], v[64:65]
	v_fma_f64 v[160:161], v[10:11], s[0:1], -v[162:163]
	v_mul_f64 v[150:151], v[150:151], s[34:35]
	v_add_f64 v[144:145], v[72:73], v[144:145]
	v_add_f64 v[68:69], v[160:161], v[68:69]
	v_fma_f64 v[160:161], v[8:9], s[20:21], -v[150:151]
	v_mul_f64 v[148:149], v[148:149], s[34:35]
	v_fmac_f64_e32 v[150:151], s[20:21], v[8:9]
	v_add_f64 v[146:147], v[74:75], v[146:147]
	v_add_f64 v[6:7], v[74:75], v[6:7]
	;; [unrolled: 1-line block ×3, first 2 shown]
	v_fma_f64 v[160:161], s[20:21], v[10:11], v[148:149]
	v_add_f64 v[4:5], v[150:151], v[4:5]
	v_fma_f64 v[8:9], v[10:11], s[20:21], -v[148:149]
	v_add_f64 v[150:151], v[86:87], -v[114:115]
	v_add_f64 v[62:63], v[74:75], v[62:63]
	v_add_f64 v[146:147], v[160:161], v[146:147]
	;; [unrolled: 1-line block ×4, first 2 shown]
	v_mul_f64 v[160:161], v[150:151], s[38:39]
	v_add_f64 v[62:63], v[164:165], v[62:63]
	v_fma_f64 v[164:165], s[0:1], v[10:11], v[162:163]
	v_add_f64 v[148:149], v[84:85], -v[112:113]
	v_fma_f64 v[162:163], v[8:9], s[0:1], -v[160:161]
	v_add_f64 v[10:11], v[86:87], v[114:115]
	v_add_f64 v[14:15], v[162:163], v[14:15]
	v_mul_f64 v[162:163], v[148:149], s[38:39]
	v_fmac_f64_e32 v[160:161], s[0:1], v[8:9]
	v_add_f64 v[12:13], v[160:161], v[12:13]
	v_fma_f64 v[160:161], v[10:11], s[0:1], -v[162:163]
	v_add_f64 v[70:71], v[74:75], v[70:71]
	v_add_f64 v[32:33], v[160:161], v[32:33]
	v_mul_f64 v[160:161], v[150:151], s[28:29]
	v_add_f64 v[70:71], v[164:165], v[70:71]
	v_fma_f64 v[164:165], s[0:1], v[10:11], v[162:163]
	v_fma_f64 v[162:163], v[8:9], s[26:27], -v[160:161]
	v_add_f64 v[42:43], v[162:163], v[42:43]
	v_mul_f64 v[162:163], v[148:149], s[28:29]
	v_fmac_f64_e32 v[160:161], s[26:27], v[8:9]
	v_add_f64 v[40:41], v[160:161], v[40:41]
	v_fma_f64 v[160:161], v[10:11], s[26:27], -v[162:163]
	v_add_f64 v[44:45], v[160:161], v[44:45]
	v_mul_f64 v[160:161], v[150:151], s[44:45]
	v_add_f64 v[34:35], v[164:165], v[34:35]
	v_fma_f64 v[164:165], s[26:27], v[10:11], v[162:163]
	v_fma_f64 v[162:163], v[8:9], s[2:3], -v[160:161]
	v_add_f64 v[50:51], v[162:163], v[50:51]
	v_mul_f64 v[162:163], v[148:149], s[44:45]
	v_fmac_f64_e32 v[160:161], s[2:3], v[8:9]
	v_add_f64 v[48:49], v[160:161], v[48:49]
	v_fma_f64 v[160:161], v[10:11], s[2:3], -v[162:163]
	;; [unrolled: 10-line block ×4, first 2 shown]
	v_mul_f64 v[150:151], v[150:151], s[24:25]
	v_add_f64 v[68:69], v[160:161], v[68:69]
	v_fma_f64 v[160:161], v[8:9], s[22:23], -v[150:151]
	v_mul_f64 v[148:149], v[148:149], s[24:25]
	v_fmac_f64_e32 v[150:151], s[22:23], v[8:9]
	v_add_f64 v[144:145], v[160:161], v[144:145]
	v_fma_f64 v[160:161], s[22:23], v[10:11], v[148:149]
	v_add_f64 v[4:5], v[150:151], v[4:5]
	v_fma_f64 v[8:9], v[10:11], s[22:23], -v[148:149]
	v_add_f64 v[150:151], v[90:91], -v[110:111]
	v_add_f64 v[146:147], v[160:161], v[146:147]
	v_add_f64 v[6:7], v[8:9], v[6:7]
	;; [unrolled: 1-line block ×3, first 2 shown]
	v_mul_f64 v[160:161], v[150:151], s[16:17]
	v_add_f64 v[62:63], v[164:165], v[62:63]
	v_fma_f64 v[164:165], s[14:15], v[10:11], v[162:163]
	v_add_f64 v[148:149], v[88:89], -v[108:109]
	v_fma_f64 v[162:163], v[8:9], s[2:3], -v[160:161]
	v_add_f64 v[10:11], v[90:91], v[110:111]
	v_add_f64 v[14:15], v[162:163], v[14:15]
	v_mul_f64 v[162:163], v[148:149], s[16:17]
	v_fmac_f64_e32 v[160:161], s[2:3], v[8:9]
	v_add_f64 v[12:13], v[160:161], v[12:13]
	v_fma_f64 v[160:161], v[10:11], s[2:3], -v[162:163]
	v_add_f64 v[32:33], v[160:161], v[32:33]
	v_mul_f64 v[160:161], v[150:151], s[40:41]
	v_add_f64 v[70:71], v[164:165], v[70:71]
	v_fma_f64 v[164:165], s[2:3], v[10:11], v[162:163]
	v_fma_f64 v[162:163], v[8:9], s[22:23], -v[160:161]
	v_add_f64 v[42:43], v[162:163], v[42:43]
	v_mul_f64 v[162:163], v[148:149], s[40:41]
	v_fmac_f64_e32 v[160:161], s[22:23], v[8:9]
	v_add_f64 v[40:41], v[160:161], v[40:41]
	v_fma_f64 v[160:161], v[10:11], s[22:23], -v[162:163]
	v_add_f64 v[44:45], v[160:161], v[44:45]
	v_mul_f64 v[160:161], v[150:151], s[34:35]
	v_add_f64 v[34:35], v[164:165], v[34:35]
	v_fma_f64 v[164:165], s[22:23], v[10:11], v[162:163]
	v_fma_f64 v[162:163], v[8:9], s[20:21], -v[160:161]
	;; [unrolled: 10-line block ×4, first 2 shown]
	v_add_f64 v[66:67], v[162:163], v[66:67]
	v_mul_f64 v[162:163], v[148:149], s[42:43]
	v_fmac_f64_e32 v[160:161], s[26:27], v[8:9]
	v_add_f64 v[64:65], v[160:161], v[64:65]
	v_fma_f64 v[160:161], v[10:11], s[26:27], -v[162:163]
	v_mul_f64 v[150:151], v[150:151], s[36:37]
	v_add_f64 v[68:69], v[160:161], v[68:69]
	v_fma_f64 v[160:161], v[8:9], s[14:15], -v[150:151]
	v_mul_f64 v[148:149], v[148:149], s[36:37]
	v_fmac_f64_e32 v[150:151], s[14:15], v[8:9]
	v_add_f64 v[8:9], v[150:151], v[4:5]
	v_fma_f64 v[4:5], v[10:11], s[14:15], -v[148:149]
	v_add_f64 v[62:63], v[164:165], v[62:63]
	v_fma_f64 v[164:165], s[26:27], v[10:11], v[162:163]
	v_add_f64 v[144:145], v[160:161], v[144:145]
	v_fma_f64 v[160:161], s[14:15], v[10:11], v[148:149]
	v_add_f64 v[10:11], v[4:5], v[6:7]
	v_add_f64 v[4:5], v[94:95], -v[106:107]
	v_add_f64 v[146:147], v[160:161], v[146:147]
	v_add_f64 v[148:149], v[92:93], v[104:105]
	v_mul_f64 v[160:161], v[4:5], s[24:25]
	v_add_f64 v[6:7], v[92:93], -v[104:105]
	v_fma_f64 v[162:163], v[148:149], s[22:23], -v[160:161]
	v_add_f64 v[150:151], v[94:95], v[106:107]
	v_add_f64 v[162:163], v[162:163], v[14:15]
	v_mul_f64 v[14:15], v[6:7], s[24:25]
	v_fmac_f64_e32 v[160:161], s[22:23], v[148:149]
	v_add_f64 v[160:161], v[160:161], v[12:13]
	v_fma_f64 v[12:13], v[150:151], s[22:23], -v[14:15]
	v_add_f64 v[166:167], v[12:13], v[32:33]
	v_mul_f64 v[12:13], v[4:5], s[18:19]
	v_add_f64 v[70:71], v[164:165], v[70:71]
	v_fma_f64 v[164:165], s[22:23], v[150:151], v[14:15]
	v_fma_f64 v[14:15], v[148:149], s[0:1], -v[12:13]
	v_add_f64 v[168:169], v[14:15], v[42:43]
	v_mul_f64 v[14:15], v[6:7], s[18:19]
	v_fmac_f64_e32 v[12:13], s[0:1], v[148:149]
	v_add_f64 v[172:173], v[12:13], v[40:41]
	v_fma_f64 v[12:13], v[150:151], s[0:1], -v[14:15]
	v_add_f64 v[174:175], v[12:13], v[44:45]
	v_mul_f64 v[12:13], v[4:5], s[30:31]
	v_fma_f64 v[32:33], s[0:1], v[150:151], v[14:15]
	v_fma_f64 v[14:15], v[148:149], s[14:15], -v[12:13]
	v_add_f64 v[178:179], v[14:15], v[50:51]
	v_mul_f64 v[14:15], v[6:7], s[30:31]
	v_fmac_f64_e32 v[12:13], s[14:15], v[148:149]
	v_add_f64 v[182:183], v[12:13], v[48:49]
	v_fma_f64 v[12:13], v[150:151], s[14:15], -v[14:15]
	v_add_f64 v[186:187], v[12:13], v[52:53]
	v_mul_f64 v[12:13], v[4:5], s[42:43]
	v_add_f64 v[170:171], v[32:33], v[46:47]
	v_fma_f64 v[32:33], s[14:15], v[150:151], v[14:15]
	v_fma_f64 v[14:15], v[148:149], s[26:27], -v[12:13]
	v_add_f64 v[180:181], v[32:33], v[54:55]
	v_add_f64 v[32:33], v[14:15], v[58:59]
	v_mul_f64 v[14:15], v[6:7], s[42:43]
	v_fmac_f64_e32 v[12:13], s[26:27], v[148:149]
	v_add_f64 v[56:57], v[12:13], v[56:57]
	v_fma_f64 v[12:13], v[150:151], s[26:27], -v[14:15]
	v_add_f64 v[58:59], v[12:13], v[60:61]
	v_mul_f64 v[12:13], v[4:5], s[34:35]
	v_add_f64 v[164:165], v[164:165], v[34:35]
	v_fma_f64 v[34:35], s[26:27], v[150:151], v[14:15]
	v_fma_f64 v[14:15], v[148:149], s[20:21], -v[12:13]
	v_add_f64 v[40:41], v[14:15], v[66:67]
	v_mul_f64 v[14:15], v[6:7], s[34:35]
	v_fmac_f64_e32 v[12:13], s[20:21], v[148:149]
	v_add_f64 v[44:45], v[12:13], v[64:65]
	v_fma_f64 v[12:13], v[150:151], s[20:21], -v[14:15]
	v_add_f64 v[46:47], v[12:13], v[68:69]
	v_mul_f64 v[12:13], v[4:5], s[16:17]
	v_fma_f64 v[42:43], s[20:21], v[150:151], v[14:15]
	v_fma_f64 v[4:5], v[148:149], s[2:3], -v[12:13]
	v_mul_f64 v[14:15], v[6:7], s[16:17]
	v_fmac_f64_e32 v[12:13], s[2:3], v[148:149]
	v_add_f64 v[12:13], v[12:13], v[8:9]
	v_fma_f64 v[8:9], v[150:151], s[2:3], -v[14:15]
	v_add_f64 v[54:55], v[98:99], -v[102:103]
	v_fma_f64 v[6:7], s[2:3], v[150:151], v[14:15]
	v_add_f64 v[14:15], v[8:9], v[10:11]
	v_add_f64 v[50:51], v[96:97], v[100:101]
	v_mul_f64 v[8:9], v[54:55], s[28:29]
	v_add_f64 v[52:53], v[96:97], -v[100:101]
	v_fma_f64 v[10:11], v[50:51], s[26:27], -v[8:9]
	v_add_f64 v[4:5], v[4:5], v[144:145]
	v_add_f64 v[48:49], v[98:99], v[102:103]
	;; [unrolled: 1-line block ×3, first 2 shown]
	v_mul_f64 v[10:11], v[52:53], s[28:29]
	v_fma_f64 v[60:61], s[26:27], v[48:49], v[10:11]
	v_fmac_f64_e32 v[8:9], s[26:27], v[50:51]
	v_add_f64 v[6:7], v[6:7], v[146:147]
	v_add_f64 v[146:147], v[60:61], v[164:165]
	v_add_f64 v[196:197], v[8:9], v[160:161]
	v_fma_f64 v[8:9], v[48:49], s[26:27], -v[10:11]
	v_mul_f64 v[60:61], v[54:55], s[34:35]
	v_add_f64 v[34:35], v[34:35], v[62:63]
	v_add_f64 v[198:199], v[8:9], v[166:167]
	v_fma_f64 v[8:9], v[50:51], s[20:21], -v[60:61]
	v_mul_f64 v[62:63], v[52:53], s[34:35]
	v_fmac_f64_e32 v[60:61], s[20:21], v[50:51]
	v_add_f64 v[164:165], v[60:61], v[172:173]
	v_fma_f64 v[60:61], v[48:49], s[20:21], -v[62:63]
	v_add_f64 v[166:167], v[60:61], v[174:175]
	v_mul_f64 v[60:61], v[54:55], s[24:25]
	v_fma_f64 v[10:11], s[20:21], v[48:49], v[62:63]
	v_fma_f64 v[62:63], v[50:51], s[22:23], -v[60:61]
	v_add_f64 v[148:149], v[62:63], v[178:179]
	v_mul_f64 v[62:63], v[52:53], s[24:25]
	v_fmac_f64_e32 v[60:61], s[22:23], v[50:51]
	v_add_f64 v[8:9], v[8:9], v[168:169]
	v_add_f64 v[168:169], v[60:61], v[182:183]
	v_fma_f64 v[60:61], v[48:49], s[22:23], -v[62:63]
	v_add_f64 v[10:11], v[10:11], v[170:171]
	v_add_f64 v[170:171], v[60:61], v[186:187]
	v_mul_f64 v[60:61], v[54:55], s[36:37]
	v_fma_f64 v[64:65], s[22:23], v[48:49], v[62:63]
	v_fma_f64 v[62:63], v[50:51], s[14:15], -v[60:61]
	v_add_f64 v[32:33], v[62:63], v[32:33]
	v_mul_f64 v[62:63], v[52:53], s[36:37]
	v_fmac_f64_e32 v[60:61], s[14:15], v[50:51]
	v_add_f64 v[192:193], v[60:61], v[56:57]
	v_fma_f64 v[56:57], v[48:49], s[14:15], -v[62:63]
	v_add_f64 v[194:195], v[56:57], v[58:59]
	v_mul_f64 v[56:57], v[54:55], s[16:17]
	v_fma_f64 v[58:59], v[50:51], s[2:3], -v[56:57]
	v_add_f64 v[40:41], v[58:59], v[40:41]
	v_mul_f64 v[58:59], v[52:53], s[16:17]
	v_fmac_f64_e32 v[56:57], s[2:3], v[50:51]
	v_add_f64 v[150:151], v[64:65], v[180:181]
	v_add_f64 v[180:181], v[56:57], v[44:45]
	v_fma_f64 v[44:45], v[48:49], s[2:3], -v[58:59]
	v_add_f64 v[182:183], v[44:45], v[46:47]
	v_mul_f64 v[44:45], v[54:55], s[18:19]
	v_fma_f64 v[46:47], v[50:51], s[0:1], -v[44:45]
	v_add_f64 v[4:5], v[46:47], v[4:5]
	v_mul_f64 v[46:47], v[52:53], s[18:19]
	v_fmac_f64_e32 v[44:45], s[0:1], v[50:51]
	v_add_f64 v[12:13], v[44:45], v[12:13]
	v_fma_f64 v[44:45], v[48:49], s[0:1], -v[46:47]
	v_add_f64 v[14:15], v[44:45], v[14:15]
	v_mul_lo_u16_e32 v44, 13, v188
	v_lshl_add_u32 v179, v44, 4, v177
	v_add_f64 v[42:43], v[42:43], v[70:71]
	v_fma_f64 v[64:65], s[14:15], v[48:49], v[62:63]
	v_fma_f64 v[60:61], s[2:3], v[48:49], v[58:59]
	v_fma_f64 v[52:53], s[0:1], v[48:49], v[46:47]
	s_barrier
	ds_write_b128 v179, v[0:3]
	ds_write_b128 v179, v[124:127] offset:16
	ds_write_b128 v179, v[132:135] offset:32
	;; [unrolled: 1-line block ×12, first 2 shown]
	v_mul_u32_u24_e32 v0, 13, v184
	v_add_f64 v[34:35], v[64:65], v[34:35]
	v_add_f64 v[42:43], v[60:61], v[42:43]
	;; [unrolled: 1-line block ×3, first 2 shown]
	v_accvgpr_write_b32 a5, v0
	s_and_saveexec_b64 s[0:1], vcc
	s_cbranch_execz .LBB0_7
; %bb.6:
	v_add_f64 v[0:1], v[74:75], v[78:79]
	v_add_f64 v[0:1], v[0:1], v[82:83]
	;; [unrolled: 1-line block ×23, first 2 shown]
	v_accvgpr_read_b32 v16, a5
	v_add_f64 v[0:1], v[0:1], v[120:121]
	v_lshl_add_u32 v16, v16, 4, v177
	ds_write_b128 v16, v[0:3]
	ds_write_b128 v16, v[144:147] offset:16
	ds_write_b128 v16, v[8:11] offset:32
	;; [unrolled: 1-line block ×12, first 2 shown]
.LBB0_7:
	s_or_b64 exec, exec, s[0:1]
	s_waitcnt lgkmcnt(0)
	s_barrier
	ds_read_b128 v[16:19], v176
	ds_read_b128 v[0:3], v176 offset:1456
	ds_read_b128 v[108:111], v176 offset:3120
	;; [unrolled: 1-line block ×13, first 2 shown]
	v_cmp_gt_u16_e64 s[0:1], 13, v188
	s_and_saveexec_b64 s[2:3], s[0:1]
	s_cbranch_execz .LBB0_9
; %bb.8:
	ds_read_b128 v[144:147], v176 offset:2912
	ds_read_b128 v[8:11], v176 offset:6032
	;; [unrolled: 1-line block ×7, first 2 shown]
.LBB0_9:
	s_or_b64 exec, exec, s[2:3]
	s_movk_i32 s2, 0x4f
	v_mul_lo_u16_sdwa v52, v188, s2 dst_sel:DWORD dst_unused:UNUSED_PAD src0_sel:BYTE_0 src1_sel:DWORD
	v_lshrrev_b16_e32 v102, 10, v52
	v_mul_lo_u16_e32 v52, 13, v102
	v_sub_u16_e32 v103, v188, v52
	v_mov_b32_e32 v70, 6
	v_mul_u32_u24_sdwa v52, v103, v70 dst_sel:DWORD dst_unused:UNUSED_PAD src0_sel:BYTE_0 src1_sel:DWORD
	v_lshlrev_b32_e32 v68, 4, v52
	global_load_dwordx4 v[92:95], v68, s[8:9] offset:48
	global_load_dwordx4 v[64:67], v68, s[8:9] offset:32
	;; [unrolled: 1-line block ×3, first 2 shown]
	global_load_dwordx4 v[56:59], v68, s[8:9]
	s_mov_b32 s14, 0x37e14327
	s_mov_b32 s18, 0xe976ee23
	;; [unrolled: 1-line block ×18, first 2 shown]
	s_waitcnt vmcnt(3)
	v_accvgpr_write_b32 a78, v92
	s_waitcnt vmcnt(2)
	v_accvgpr_write_b32 a85, v67
	;; [unrolled: 2-line block ×3, first 2 shown]
	s_waitcnt vmcnt(0) lgkmcnt(11)
	v_mul_f64 v[52:53], v[110:111], v[58:59]
	v_mul_f64 v[54:55], v[108:109], v[58:59]
	v_accvgpr_write_b32 a93, v59
	v_fma_f64 v[52:53], v[108:109], v[56:57], -v[52:53]
	v_accvgpr_write_b32 a92, v58
	v_accvgpr_write_b32 a91, v57
	;; [unrolled: 1-line block ×3, first 2 shown]
	v_fmac_f64_e32 v[54:55], v[110:111], v[56:57]
	s_waitcnt lgkmcnt(9)
	v_mul_f64 v[56:57], v[90:91], v[62:63]
	v_mul_f64 v[58:59], v[88:89], v[62:63]
	v_fma_f64 v[56:57], v[88:89], v[60:61], -v[56:57]
	v_accvgpr_write_b32 a88, v62
	v_accvgpr_write_b32 a87, v61
	;; [unrolled: 1-line block ×3, first 2 shown]
	v_fmac_f64_e32 v[58:59], v[90:91], v[60:61]
	s_waitcnt lgkmcnt(7)
	v_mul_f64 v[60:61], v[86:87], v[66:67]
	v_mul_f64 v[62:63], v[84:85], v[66:67]
	v_fma_f64 v[60:61], v[84:85], v[64:65], -v[60:61]
	v_fmac_f64_e32 v[62:63], v[86:87], v[64:65]
	global_load_dwordx4 v[88:91], v68, s[8:9] offset:80
	global_load_dwordx4 v[84:87], v68, s[8:9] offset:64
	v_accvgpr_write_b32 a84, v66
	v_accvgpr_write_b32 a83, v65
	;; [unrolled: 1-line block ×3, first 2 shown]
	s_waitcnt lgkmcnt(5)
	v_mul_f64 v[64:65], v[82:83], v[94:95]
	v_mul_f64 v[66:67], v[80:81], v[94:95]
	v_fma_f64 v[64:65], v[80:81], v[92:93], -v[64:65]
	v_fmac_f64_e32 v[66:67], v[82:83], v[92:93]
	v_accvgpr_write_b32 a79, v93
	v_accvgpr_write_b32 a80, v94
	;; [unrolled: 1-line block ×3, first 2 shown]
	s_waitcnt vmcnt(1)
	v_accvgpr_write_b32 a101, v91
	s_waitcnt vmcnt(0) lgkmcnt(3)
	v_mul_f64 v[68:69], v[78:79], v[86:87]
	v_fma_f64 v[80:81], v[76:77], v[84:85], -v[68:69]
	v_mul_f64 v[82:83], v[76:77], v[86:87]
	v_accvgpr_write_b32 a105, v87
	s_waitcnt lgkmcnt(1)
	v_mul_f64 v[68:69], v[74:75], v[90:91]
	v_accvgpr_write_b32 a104, v86
	v_accvgpr_write_b32 a103, v85
	;; [unrolled: 1-line block ×3, first 2 shown]
	v_fmac_f64_e32 v[82:83], v[78:79], v[84:85]
	v_fma_f64 v[84:85], v[72:73], v[88:89], -v[68:69]
	v_mul_lo_u16_sdwa v68, v184, s2 dst_sel:DWORD dst_unused:UNUSED_PAD src0_sel:BYTE_0 src1_sel:DWORD
	v_lshrrev_b16_e32 v104, 10, v68
	v_mul_lo_u16_e32 v68, 13, v104
	v_sub_u16_e32 v105, v184, v68
	v_mul_u32_u24_sdwa v68, v105, v70 dst_sel:DWORD dst_unused:UNUSED_PAD src0_sel:BYTE_0 src1_sel:DWORD
	v_mul_f64 v[86:87], v[72:73], v[90:91]
	v_lshlrev_b32_e32 v72, 4, v68
	v_accvgpr_write_b32 a100, v90
	v_accvgpr_write_b32 a99, v89
	;; [unrolled: 1-line block ×3, first 2 shown]
	v_fmac_f64_e32 v[86:87], v[74:75], v[88:89]
	global_load_dwordx4 v[74:77], v72, s[8:9] offset:48
	global_load_dwordx4 v[88:91], v72, s[8:9] offset:32
	;; [unrolled: 1-line block ×3, first 2 shown]
	global_load_dwordx4 v[96:99], v72, s[8:9]
	s_mov_b64 s[2:3], 0xb6
	s_waitcnt vmcnt(3)
	v_accvgpr_write_b32 a109, v77
	v_accvgpr_write_b32 a108, v76
	s_waitcnt vmcnt(1)
	v_accvgpr_write_b32 a117, v95
	s_waitcnt vmcnt(0)
	v_mul_f64 v[68:69], v[50:51], v[98:99]
	v_fma_f64 v[68:69], v[48:49], v[96:97], -v[68:69]
	v_mul_f64 v[48:49], v[48:49], v[98:99]
	v_fmac_f64_e32 v[48:49], v[50:51], v[96:97]
	v_mul_f64 v[50:51], v[46:47], v[94:95]
	v_fma_f64 v[70:71], v[44:45], v[92:93], -v[50:51]
	v_mul_f64 v[44:45], v[44:45], v[94:95]
	v_fmac_f64_e32 v[44:45], v[46:47], v[92:93]
	;; [unrolled: 4-line block ×3, first 2 shown]
	v_mul_f64 v[38:39], v[30:31], v[76:77]
	v_fma_f64 v[38:39], v[28:29], v[74:75], -v[38:39]
	v_mul_f64 v[28:29], v[28:29], v[76:77]
	v_accvgpr_write_b32 a116, v94
	v_accvgpr_write_b32 a115, v93
	;; [unrolled: 1-line block ×5, first 2 shown]
	v_fmac_f64_e32 v[28:29], v[30:31], v[74:75]
	global_load_dwordx4 v[74:77], v72, s[8:9] offset:80
	global_load_dwordx4 v[92:95], v72, s[8:9] offset:64
	v_accvgpr_write_b32 a113, v91
	v_accvgpr_write_b32 a112, v90
	;; [unrolled: 1-line block ×4, first 2 shown]
	v_lshl_add_u64 v[50:51], v[188:189], 0, s[2:3]
	s_movk_i32 s2, 0x4ec5
	v_accvgpr_write_b32 a125, v99
	v_accvgpr_write_b32 a124, v98
	;; [unrolled: 1-line block ×4, first 2 shown]
	s_waitcnt vmcnt(1)
	v_accvgpr_write_b32 a121, v77
	s_waitcnt vmcnt(0)
	v_mul_f64 v[30:31], v[26:27], v[94:95]
	v_fma_f64 v[88:89], v[24:25], v[92:93], -v[30:31]
	v_mul_f64 v[90:91], v[24:25], v[94:95]
	v_accvgpr_write_b32 a129, v95
	s_waitcnt lgkmcnt(0)
	v_mul_f64 v[24:25], v[22:23], v[76:77]
	v_accvgpr_write_b32 a128, v94
	v_accvgpr_write_b32 a127, v93
	;; [unrolled: 1-line block ×3, first 2 shown]
	v_fmac_f64_e32 v[90:91], v[26:27], v[92:93]
	v_fma_f64 v[92:93], v[20:21], v[74:75], -v[24:25]
	v_mul_f64 v[94:95], v[20:21], v[76:77]
	v_mul_u32_u24_sdwa v20, v50, s2 dst_sel:DWORD dst_unused:UNUSED_PAD src0_sel:WORD_0 src1_sel:DWORD
	v_lshrrev_b32_e32 v20, 18, v20
	v_mul_lo_u16_e32 v20, 13, v20
	v_sub_u16_e32 v51, v50, v20
	v_mul_lo_u16_e32 v20, 6, v51
	v_fmac_f64_e32 v[94:95], v[22:23], v[74:75]
	v_lshlrev_b32_e32 v22, 4, v20
	v_accvgpr_write_b32 a120, v76
	v_accvgpr_write_b32 a119, v75
	;; [unrolled: 1-line block ×3, first 2 shown]
	global_load_dwordx4 v[24:27], v22, s[8:9] offset:48
	global_load_dwordx4 v[96:99], v22, s[8:9] offset:32
	;; [unrolled: 1-line block ×3, first 2 shown]
	global_load_dwordx4 v[74:77], v22, s[8:9]
	s_mov_b32 s2, 0x36b3c0b5
	s_mov_b32 s3, 0x3fac98ee
	s_waitcnt vmcnt(3)
	v_accvgpr_write_b32 a61, v27
	v_accvgpr_write_b32 a60, v26
	;; [unrolled: 1-line block ×3, first 2 shown]
	s_waitcnt vmcnt(0)
	v_mul_f64 v[20:21], v[10:11], v[76:77]
	v_fma_f64 v[30:31], v[8:9], v[74:75], -v[20:21]
	v_mul_f64 v[72:73], v[8:9], v[76:77]
	v_accvgpr_write_b32 a70, v74
	v_mul_f64 v[8:9], v[150:151], v[108:109]
	v_accvgpr_write_b32 a71, v75
	v_accvgpr_write_b32 a72, v76
	;; [unrolled: 1-line block ×3, first 2 shown]
	v_fmac_f64_e32 v[72:73], v[10:11], v[74:75]
	v_fma_f64 v[74:75], v[148:149], v[106:107], -v[8:9]
	v_mul_f64 v[8:9], v[34:35], v[98:99]
	v_fma_f64 v[78:79], v[32:33], v[96:97], -v[8:9]
	v_mul_f64 v[32:33], v[32:33], v[98:99]
	v_mul_f64 v[8:9], v[42:43], v[26:27]
	v_fmac_f64_e32 v[32:33], v[34:35], v[96:97]
	v_fma_f64 v[34:35], v[40:41], v[24:25], -v[8:9]
	v_mul_f64 v[40:41], v[40:41], v[26:27]
	v_accvgpr_write_b32 a58, v24
	v_fmac_f64_e32 v[40:41], v[42:43], v[24:25]
	global_load_dwordx4 v[24:27], v22, s[8:9] offset:80
	s_nop 0
	global_load_dwordx4 v[20:23], v22, s[8:9] offset:64
	v_accvgpr_write_b32 a62, v96
	v_accvgpr_write_b32 a63, v97
	;; [unrolled: 1-line block ×4, first 2 shown]
	v_add_f64 v[10:11], v[54:55], -v[86:87]
	v_mul_f64 v[76:77], v[148:149], v[108:109]
	v_fmac_f64_e32 v[76:77], v[150:151], v[106:107]
	s_barrier
	v_accvgpr_write_b32 a66, v106
	v_accvgpr_write_b32 a67, v107
	;; [unrolled: 1-line block ×4, first 2 shown]
	s_waitcnt vmcnt(1)
	v_mul_f64 v[100:101], v[12:13], v[26:27]
	s_waitcnt vmcnt(0)
	v_mul_f64 v[8:9], v[6:7], v[22:23]
	v_fma_f64 v[42:43], v[4:5], v[20:21], -v[8:9]
	v_mul_f64 v[96:97], v[4:5], v[22:23]
	v_mul_f64 v[4:5], v[14:15], v[26:27]
	v_accvgpr_write_b32 a97, v23
	v_fma_f64 v[98:99], v[12:13], v[24:25], -v[4:5]
	v_accvgpr_write_b32 a77, v27
	v_add_f64 v[4:5], v[52:53], v[84:85]
	v_add_f64 v[12:13], v[56:57], v[80:81]
	v_accvgpr_write_b32 a96, v22
	v_accvgpr_write_b32 a95, v21
	;; [unrolled: 1-line block ×3, first 2 shown]
	v_fmac_f64_e32 v[96:97], v[6:7], v[20:21]
	v_accvgpr_write_b32 a76, v26
	v_accvgpr_write_b32 a75, v25
	;; [unrolled: 1-line block ×3, first 2 shown]
	v_fmac_f64_e32 v[100:101], v[14:15], v[24:25]
	v_add_f64 v[6:7], v[54:55], v[86:87]
	v_add_f64 v[8:9], v[52:53], -v[84:85]
	v_add_f64 v[14:15], v[58:59], v[82:83]
	v_add_f64 v[20:21], v[56:57], -v[80:81]
	;; [unrolled: 2-line block ×6, first 2 shown]
	v_add_f64 v[64:65], v[4:5], -v[24:25]
	v_add_f64 v[12:13], v[24:25], -v[12:13]
	v_add_f64 v[4:5], v[52:53], v[20:21]
	v_add_f64 v[24:25], v[24:25], v[56:57]
	v_add_f64 v[62:63], v[14:15], -v[6:7]
	v_add_f64 v[66:67], v[6:7], -v[26:27]
	;; [unrolled: 1-line block ×3, first 2 shown]
	v_add_f64 v[6:7], v[54:55], v[22:23]
	v_add_f64 v[80:81], v[52:53], -v[20:21]
	v_add_f64 v[52:53], v[8:9], -v[52:53]
	;; [unrolled: 1-line block ×3, first 2 shown]
	v_add_f64 v[26:27], v[26:27], v[58:59]
	v_add_f64 v[8:9], v[4:5], v[8:9]
	;; [unrolled: 1-line block ×3, first 2 shown]
	v_add_f64 v[82:83], v[54:55], -v[22:23]
	v_add_f64 v[54:55], v[10:11], -v[54:55]
	;; [unrolled: 1-line block ×3, first 2 shown]
	v_add_f64 v[10:11], v[6:7], v[10:11]
	v_add_f64 v[6:7], v[18:19], v[26:27]
	v_mov_b64_e32 v[84:85], v[4:5]
	v_mul_f64 v[16:17], v[64:65], s[14:15]
	v_mul_f64 v[18:19], v[66:67], s[14:15]
	v_mul_f64 v[56:57], v[12:13], s[2:3]
	v_mul_f64 v[58:59], v[14:15], s[2:3]
	v_mul_f64 v[64:65], v[80:81], s[18:19]
	v_mul_f64 v[66:67], v[82:83], s[18:19]
	v_mul_f64 v[80:81], v[20:21], s[16:17]
	v_mul_f64 v[82:83], v[22:23], s[16:17]
	v_fmac_f64_e32 v[84:85], s[20:21], v[24:25]
	v_mov_b64_e32 v[24:25], v[6:7]
	v_fmac_f64_e32 v[24:25], s[20:21], v[26:27]
	v_fma_f64 v[26:27], v[60:61], s[22:23], -v[56:57]
	v_fma_f64 v[56:57], v[62:63], s[22:23], -v[58:59]
	;; [unrolled: 1-line block ×3, first 2 shown]
	v_fmac_f64_e32 v[16:17], s[2:3], v[12:13]
	v_fma_f64 v[12:13], v[62:63], s[24:25], -v[18:19]
	v_fma_f64 v[60:61], v[20:21], s[16:17], -v[64:65]
	v_fmac_f64_e32 v[64:65], s[26:27], v[52:53]
	v_fma_f64 v[20:21], v[22:23], s[16:17], -v[66:67]
	v_fmac_f64_e32 v[66:67], s[26:27], v[54:55]
	v_fma_f64 v[52:53], v[52:53], s[30:31], -v[80:81]
	v_fma_f64 v[54:55], v[54:55], s[30:31], -v[82:83]
	v_fmac_f64_e32 v[18:19], s[2:3], v[14:15]
	v_add_f64 v[62:63], v[16:17], v[84:85]
	v_add_f64 v[22:23], v[26:27], v[84:85]
	;; [unrolled: 1-line block ×5, first 2 shown]
	v_fmac_f64_e32 v[66:67], s[28:29], v[10:11]
	v_fmac_f64_e32 v[60:61], s[28:29], v[8:9]
	;; [unrolled: 1-line block ×5, first 2 shown]
	v_add_f64 v[80:81], v[18:19], v[24:25]
	v_fmac_f64_e32 v[64:65], s[28:29], v[8:9]
	v_add_f64 v[8:9], v[66:67], v[62:63]
	v_add_f64 v[12:13], v[54:55], v[56:57]
	v_add_f64 v[14:15], v[58:59], -v[52:53]
	v_add_f64 v[16:17], v[22:23], -v[20:21]
	v_add_f64 v[18:19], v[60:61], v[26:27]
	v_add_f64 v[20:21], v[20:21], v[22:23]
	v_add_f64 v[22:23], v[26:27], -v[60:61]
	v_add_f64 v[24:25], v[56:57], -v[54:55]
	v_add_f64 v[26:27], v[52:53], v[58:59]
	v_add_f64 v[52:53], v[62:63], -v[66:67]
	v_add_f64 v[56:57], v[68:69], v[92:93]
	v_add_f64 v[62:63], v[70:71], v[88:89]
	v_add_f64 v[10:11], v[80:81], -v[64:65]
	v_add_f64 v[54:55], v[64:65], v[80:81]
	v_add_f64 v[58:59], v[48:49], v[94:95]
	v_add_f64 v[60:61], v[68:69], -v[92:93]
	v_add_f64 v[64:65], v[44:45], v[90:91]
	v_add_f64 v[66:67], v[70:71], -v[88:89]
	v_add_f64 v[68:69], v[46:47], v[38:39]
	v_add_f64 v[70:71], v[36:37], v[28:29]
	v_add_f64 v[28:29], v[28:29], -v[36:37]
	v_add_f64 v[36:37], v[62:63], v[56:57]
	v_add_f64 v[44:45], v[44:45], -v[90:91]
	v_add_f64 v[38:39], v[38:39], -v[46:47]
	v_add_f64 v[46:47], v[64:65], v[58:59]
	v_add_f64 v[80:81], v[62:63], -v[56:57]
	v_add_f64 v[56:57], v[56:57], -v[68:69]
	;; [unrolled: 1-line block ×3, first 2 shown]
	v_add_f64 v[68:69], v[68:69], v[36:37]
	v_add_f64 v[48:49], v[48:49], -v[94:95]
	v_add_f64 v[86:87], v[28:29], v[44:45]
	v_add_f64 v[90:91], v[28:29], -v[44:45]
	v_add_f64 v[46:47], v[70:71], v[46:47]
	v_add_f64 v[36:37], v[0:1], v[68:69]
	v_add_f64 v[82:83], v[64:65], -v[58:59]
	v_add_f64 v[58:59], v[58:59], -v[70:71]
	;; [unrolled: 1-line block ×3, first 2 shown]
	v_add_f64 v[84:85], v[38:39], v[66:67]
	v_add_f64 v[88:89], v[38:39], -v[66:67]
	v_add_f64 v[92:93], v[60:61], -v[38:39]
	;; [unrolled: 1-line block ×4, first 2 shown]
	v_add_f64 v[48:49], v[86:87], v[48:49]
	v_add_f64 v[38:39], v[2:3], v[46:47]
	v_mul_f64 v[86:87], v[90:91], s[18:19]
	v_mov_b64_e32 v[90:91], v[36:37]
	v_add_f64 v[66:67], v[66:67], -v[60:61]
	v_add_f64 v[60:61], v[84:85], v[60:61]
	v_mul_f64 v[0:1], v[56:57], s[14:15]
	v_mul_f64 v[2:3], v[58:59], s[14:15]
	;; [unrolled: 1-line block ×6, first 2 shown]
	v_fmac_f64_e32 v[90:91], s[20:21], v[68:69]
	v_mov_b64_e32 v[68:69], v[38:39]
	v_mul_f64 v[70:71], v[66:67], s[16:17]
	v_fmac_f64_e32 v[68:69], s[20:21], v[46:47]
	v_fma_f64 v[46:47], v[80:81], s[22:23], -v[56:57]
	v_fma_f64 v[56:57], v[82:83], s[22:23], -v[58:59]
	v_fma_f64 v[58:59], v[80:81], s[24:25], -v[0:1]
	v_fmac_f64_e32 v[0:1], s[2:3], v[62:63]
	v_fma_f64 v[62:63], v[82:83], s[24:25], -v[2:3]
	v_fmac_f64_e32 v[2:3], s[2:3], v[64:65]
	v_fma_f64 v[66:67], v[66:67], s[16:17], -v[84:85]
	;; [unrolled: 2-line block ×4, first 2 shown]
	v_fma_f64 v[70:71], v[92:93], s[30:31], -v[70:71]
	v_add_f64 v[0:1], v[0:1], v[90:91]
	v_add_f64 v[2:3], v[2:3], v[68:69]
	;; [unrolled: 1-line block ×5, first 2 shown]
	v_fmac_f64_e32 v[84:85], s[28:29], v[60:61]
	v_fmac_f64_e32 v[86:87], s[28:29], v[48:49]
	v_fmac_f64_e32 v[66:67], s[28:29], v[60:61]
	v_fmac_f64_e32 v[64:65], s[28:29], v[48:49]
	v_fmac_f64_e32 v[28:29], s[28:29], v[48:49]
	v_add_f64 v[90:91], v[62:63], v[68:69]
	v_fmac_f64_e32 v[70:71], s[28:29], v[60:61]
	v_add_f64 v[44:45], v[86:87], v[0:1]
	v_add_f64 v[46:47], v[2:3], -v[84:85]
	v_add_f64 v[56:57], v[28:29], v[88:89]
	v_add_f64 v[60:61], v[80:81], -v[64:65]
	v_add_f64 v[62:63], v[66:67], v[82:83]
	v_add_f64 v[64:65], v[64:65], v[80:81]
	v_add_f64 v[66:67], v[82:83], -v[66:67]
	v_add_f64 v[68:69], v[88:89], -v[28:29]
	;; [unrolled: 1-line block ×3, first 2 shown]
	v_add_f64 v[82:83], v[84:85], v[2:3]
	v_add_f64 v[0:1], v[30:31], v[98:99]
	;; [unrolled: 1-line block ×3, first 2 shown]
	v_add_f64 v[28:29], v[30:31], -v[98:99]
	v_add_f64 v[30:31], v[72:73], -v[100:101]
	v_add_f64 v[48:49], v[74:75], v[42:43]
	v_add_f64 v[72:73], v[76:77], v[96:97]
	v_add_f64 v[42:43], v[74:75], -v[42:43]
	v_add_f64 v[74:75], v[76:77], -v[96:97]
	v_add_f64 v[76:77], v[78:79], v[34:35]
	v_add_f64 v[84:85], v[32:33], v[40:41]
	v_add_f64 v[34:35], v[34:35], -v[78:79]
	v_add_f64 v[58:59], v[90:91], -v[70:71]
	v_add_f64 v[70:71], v[70:71], v[90:91]
	v_add_f64 v[32:33], v[40:41], -v[32:33]
	v_add_f64 v[40:41], v[48:49], v[0:1]
	v_add_f64 v[78:79], v[72:73], v[2:3]
	v_add_f64 v[86:87], v[48:49], -v[0:1]
	v_add_f64 v[90:91], v[0:1], -v[76:77]
	;; [unrolled: 1-line block ×4, first 2 shown]
	v_add_f64 v[0:1], v[34:35], v[42:43]
	v_add_f64 v[94:95], v[34:35], -v[42:43]
	v_add_f64 v[42:43], v[42:43], -v[28:29]
	;; [unrolled: 1-line block ×5, first 2 shown]
	v_add_f64 v[40:41], v[76:77], v[40:41]
	v_add_f64 v[76:77], v[84:85], v[78:79]
	v_mul_f64 v[78:79], v[90:91], s[14:15]
	v_mul_f64 v[84:85], v[92:93], s[14:15]
	;; [unrolled: 1-line block ×5, first 2 shown]
	v_add_f64 v[28:29], v[0:1], v[28:29]
	v_mul_f64 v[92:93], v[72:73], s[2:3]
	v_fma_f64 v[48:49], s[2:3], v[48:49], v[78:79]
	v_fma_f64 v[90:91], v[86:87], s[22:23], -v[90:91]
	v_fma_f64 v[78:79], v[86:87], s[24:25], -v[78:79]
	;; [unrolled: 1-line block ×3, first 2 shown]
	v_fmac_f64_e32 v[84:85], s[2:3], v[72:73]
	v_fma_f64 v[72:73], s[26:27], v[34:35], v[94:95]
	v_fma_f64 v[42:43], v[42:43], s[16:17], -v[94:95]
	v_fma_f64 v[34:35], v[34:35], s[30:31], -v[98:99]
	v_fmac_f64_e32 v[72:73], s[28:29], v[28:29]
	v_fmac_f64_e32 v[42:43], s[28:29], v[28:29]
	;; [unrolled: 1-line block ×3, first 2 shown]
	v_mul_u32_u24_e32 v28, 0x5b, v102
	v_add_u32_sdwa v28, v28, v103 dst_sel:DWORD dst_unused:UNUSED_PAD src0_sel:DWORD src1_sel:BYTE_0
	v_add_f64 v[2:3], v[32:33], v[74:75]
	v_add_f64 v[96:97], v[32:33], -v[74:75]
	v_add_f64 v[74:75], v[74:75], -v[30:31]
	v_lshl_add_u32 v28, v28, 4, v177
	v_add_f64 v[32:33], v[30:31], -v[32:33]
	v_add_f64 v[30:31], v[2:3], v[30:31]
	v_add_f64 v[0:1], v[144:145], v[40:41]
	;; [unrolled: 1-line block ×3, first 2 shown]
	v_mul_f64 v[96:97], v[96:97], s[18:19]
	v_mul_f64 v[100:101], v[74:75], s[16:17]
	ds_write_b128 v28, v[4:7]
	ds_write_b128 v28, v[8:11] offset:208
	ds_write_b128 v28, v[12:15] offset:416
	;; [unrolled: 1-line block ×5, first 2 shown]
	v_mul_u32_u24_e32 v4, 0x5b, v104
	v_fma_f64 v[40:41], s[20:21], v[40:41], v[0:1]
	v_fma_f64 v[76:77], s[20:21], v[76:77], v[2:3]
	v_fma_f64 v[92:93], v[88:89], s[22:23], -v[92:93]
	v_fma_f64 v[74:75], v[74:75], s[16:17], -v[96:97]
	v_fmac_f64_e32 v[96:97], s[26:27], v[32:33]
	v_fma_f64 v[32:33], v[32:33], s[30:31], -v[100:101]
	v_add_u32_sdwa v4, v4, v105 dst_sel:DWORD dst_unused:UNUSED_PAD src0_sel:DWORD src1_sel:BYTE_0
	v_add_f64 v[48:49], v[48:49], v[40:41]
	v_add_f64 v[84:85], v[84:85], v[76:77]
	;; [unrolled: 1-line block ×6, first 2 shown]
	v_fmac_f64_e32 v[96:97], s[28:29], v[30:31]
	v_fmac_f64_e32 v[74:75], s[28:29], v[30:31]
	;; [unrolled: 1-line block ×3, first 2 shown]
	v_lshl_add_u32 v178, v4, 4, v177
	v_lshl_add_u32 v4, v51, 4, v177
	v_add_f64 v[216:217], v[96:97], v[48:49]
	v_add_f64 v[218:219], v[84:85], -v[72:73]
	v_add_f64 v[220:221], v[32:33], v[40:41]
	v_add_f64 v[222:223], v[76:77], -v[34:35]
	v_add_f64 v[224:225], v[88:89], -v[74:75]
	v_add_f64 v[226:227], v[42:43], v[90:91]
	v_add_f64 v[228:229], v[74:75], v[88:89]
	v_add_f64 v[230:231], v[90:91], -v[42:43]
	v_add_f64 v[232:233], v[40:41], -v[32:33]
	v_add_f64 v[234:235], v[34:35], v[76:77]
	v_add_f64 v[236:237], v[48:49], -v[96:97]
	v_add_f64 v[238:239], v[72:73], v[84:85]
	v_accvgpr_write_b32 a131, v28
	v_accvgpr_write_b32 a130, v4
	ds_write_b128 v28, v[52:55] offset:1248
	ds_write_b128 v178, v[36:39]
	ds_write_b128 v178, v[44:47] offset:208
	ds_write_b128 v178, v[56:59] offset:416
	;; [unrolled: 1-line block ×6, first 2 shown]
	s_and_saveexec_b64 s[2:3], s[0:1]
	s_cbranch_execz .LBB0_11
; %bb.10:
	v_accvgpr_read_b32 v4, a130
	ds_write_b128 v4, v[0:3] offset:20384
	ds_write_b128 v4, v[216:219] offset:20592
	;; [unrolled: 1-line block ×7, first 2 shown]
.LBB0_11:
	s_or_b64 exec, exec, s[2:3]
	v_lshlrev_b32_e32 v72, 4, v188
	v_mov_b32_e32 v73, 0
	v_lshl_add_u64 v[48:49], s[12:13], 0, v[72:73]
	v_lshlrev_b32_e32 v72, 6, v188
	s_waitcnt lgkmcnt(0)
	s_barrier
	ds_read_b128 v[8:11], v176
	ds_read_b128 v[28:31], v176 offset:4368
	ds_read_b128 v[32:35], v176 offset:8736
	ds_read_b128 v[36:39], v176 offset:13104
	ds_read_b128 v[40:43], v176 offset:17472
	ds_read_b128 v[4:7], v176 offset:1456
	ds_read_b128 v[58:61], v176 offset:5824
	ds_read_b128 v[80:83], v176 offset:10192
	ds_read_b128 v[84:87], v176 offset:14560
	ds_read_b128 v[88:91], v176 offset:18928
	ds_read_b128 v[0:3], v176 offset:2912
	ds_read_b128 v[24:27], v176 offset:7280
	ds_read_b128 v[20:23], v176 offset:11648
	ds_read_b128 v[16:19], v176 offset:16016
	ds_read_b128 v[12:15], v176 offset:20384
	global_load_dwordx4 v[144:147], v72, s[8:9] offset:1296
	global_load_dwordx4 v[148:151], v72, s[8:9] offset:1280
	;; [unrolled: 1-line block ×4, first 2 shown]
	s_movk_i32 s2, 0x6817
	v_mul_u32_u24_sdwa v54, v50, s2 dst_sel:DWORD dst_unused:UNUSED_PAD src0_sel:WORD_0 src1_sel:DWORD
	v_sub_u16_sdwa v55, v50, v54 dst_sel:DWORD dst_unused:UNUSED_PAD src0_sel:DWORD src1_sel:WORD_1
	v_lshrrev_b16_e32 v55, 1, v55
	v_add_u16_sdwa v54, v55, v54 dst_sel:DWORD dst_unused:UNUSED_PAD src0_sel:DWORD src1_sel:WORD_1
	v_lshrrev_b16_e32 v54, 6, v54
	v_mul_lo_u16_e32 v54, 0x5b, v54
	v_lshl_add_u64 v[74:75], s[8:9], 0, v[72:73]
	s_mov_b32 s12, 0x134454ff
	s_mov_b32 s13, 0x3fee6f0e
	;; [unrolled: 1-line block ×10, first 2 shown]
	v_lshlrev_b32_e32 v51, 5, v188
	v_accvgpr_write_b32 a3, v177
	v_accvgpr_write_b32 a2, v188
	s_waitcnt vmcnt(3) lgkmcnt(10)
	v_mul_f64 v[56:57], v[40:41], v[146:147]
	s_waitcnt vmcnt(2)
	v_mul_f64 v[52:53], v[36:37], v[150:151]
	s_waitcnt vmcnt(1)
	;; [unrolled: 2-line block ×3, first 2 shown]
	v_mul_f64 v[44:45], v[30:31], v[158:159]
	v_fma_f64 v[64:65], v[28:29], v[156:157], -v[44:45]
	v_mul_f64 v[44:45], v[28:29], v[158:159]
	v_mul_f64 v[28:29], v[34:35], v[154:155]
	v_fma_f64 v[66:67], v[32:33], v[152:153], -v[28:29]
	v_mul_f64 v[28:29], v[38:39], v[150:151]
	v_fma_f64 v[68:69], v[36:37], v[148:149], -v[28:29]
	v_mul_f64 v[28:29], v[42:43], v[146:147]
	s_waitcnt lgkmcnt(6)
	v_mul_f64 v[32:33], v[86:87], v[150:151]
	v_fma_f64 v[78:79], v[40:41], v[144:145], -v[28:29]
	v_fma_f64 v[40:41], v[84:85], v[148:149], -v[32:33]
	v_mul_f64 v[32:33], v[84:85], v[150:151]
	v_sub_u16_e32 v84, v50, v54
	v_fmac_f64_e32 v[44:45], v[30:31], v[156:157]
	v_fmac_f64_e32 v[46:47], v[34:35], v[152:153]
	v_mul_f64 v[28:29], v[60:61], v[158:159]
	v_mul_f64 v[30:31], v[82:83], v[154:155]
	s_waitcnt lgkmcnt(5)
	v_mul_f64 v[34:35], v[90:91], v[146:147]
	v_lshlrev_b16_e32 v72, 6, v84
	v_fmac_f64_e32 v[52:53], v[38:39], v[148:149]
	v_fmac_f64_e32 v[56:57], v[42:43], v[144:145]
	v_fma_f64 v[36:37], v[58:59], v[156:157], -v[28:29]
	v_mul_f64 v[28:29], v[58:59], v[158:159]
	v_fma_f64 v[38:39], v[80:81], v[152:153], -v[30:31]
	v_mul_f64 v[30:31], v[80:81], v[154:155]
	;; [unrolled: 2-line block ×3, first 2 shown]
	v_lshl_add_u64 v[54:55], s[8:9], 0, v[72:73]
	v_fmac_f64_e32 v[28:29], v[60:61], v[156:157]
	v_fmac_f64_e32 v[30:31], v[82:83], v[152:153]
	;; [unrolled: 1-line block ×4, first 2 shown]
	global_load_dwordx4 v[86:89], v[54:55], off offset:1296
	global_load_dwordx4 v[90:93], v[54:55], off offset:1280
	;; [unrolled: 1-line block ×4, first 2 shown]
	s_waitcnt lgkmcnt(0)
	s_barrier
	v_lshlrev_b32_e32 v72, 5, v184
	s_waitcnt vmcnt(3)
	v_accvgpr_write_b32 a135, v89
	v_accvgpr_write_b32 a134, v88
	s_waitcnt vmcnt(1)
	v_mul_f64 v[58:59], v[20:21], v[62:63]
	s_waitcnt vmcnt(0)
	v_mul_f64 v[54:55], v[26:27], v[82:83]
	v_fma_f64 v[70:71], v[24:25], v[80:81], -v[54:55]
	v_mul_f64 v[54:55], v[24:25], v[82:83]
	v_mul_f64 v[24:25], v[22:23], v[62:63]
	v_accvgpr_write_b32 a147, v83
	v_fma_f64 v[76:77], v[20:21], v[60:61], -v[24:25]
	v_accvgpr_write_b32 a143, v63
	v_mul_f64 v[20:21], v[18:19], v[92:93]
	v_accvgpr_write_b32 a146, v82
	v_accvgpr_write_b32 a145, v81
	;; [unrolled: 1-line block ×3, first 2 shown]
	v_fmac_f64_e32 v[54:55], v[26:27], v[80:81]
	v_accvgpr_write_b32 a142, v62
	v_accvgpr_write_b32 a141, v61
	;; [unrolled: 1-line block ×3, first 2 shown]
	v_fmac_f64_e32 v[58:59], v[22:23], v[60:61]
	v_fma_f64 v[80:81], v[16:17], v[90:91], -v[20:21]
	v_mul_f64 v[60:61], v[16:17], v[92:93]
	v_mul_f64 v[16:17], v[14:15], v[88:89]
	v_fma_f64 v[82:83], v[12:13], v[86:87], -v[16:17]
	v_mul_f64 v[62:63], v[12:13], v[88:89]
	v_add_f64 v[12:13], v[8:9], v[64:65]
	v_add_f64 v[12:13], v[12:13], v[66:67]
	;; [unrolled: 1-line block ×5, first 2 shown]
	v_fmac_f64_e32 v[62:63], v[14:15], v[86:87]
	v_fma_f64 v[12:13], -0.5, v[12:13], v[8:9]
	v_add_f64 v[14:15], v[44:45], -v[56:57]
	v_fmac_f64_e32 v[60:61], v[18:19], v[90:91]
	v_fma_f64 v[20:21], s[12:13], v[14:15], v[12:13]
	v_add_f64 v[18:19], v[46:47], -v[52:53]
	v_add_f64 v[22:23], v[64:65], -v[66:67]
	;; [unrolled: 1-line block ×3, first 2 shown]
	v_fmac_f64_e32 v[12:13], s[16:17], v[14:15]
	v_fmac_f64_e32 v[20:21], s[2:3], v[18:19]
	v_add_f64 v[22:23], v[22:23], v[24:25]
	v_fmac_f64_e32 v[12:13], s[18:19], v[18:19]
	v_fmac_f64_e32 v[20:21], s[14:15], v[22:23]
	;; [unrolled: 1-line block ×3, first 2 shown]
	v_add_f64 v[22:23], v[64:65], v[78:79]
	v_fmac_f64_e32 v[8:9], -0.5, v[22:23]
	v_fma_f64 v[24:25], s[16:17], v[18:19], v[8:9]
	v_fmac_f64_e32 v[8:9], s[12:13], v[18:19]
	v_fmac_f64_e32 v[24:25], s[2:3], v[14:15]
	;; [unrolled: 1-line block ×3, first 2 shown]
	v_add_f64 v[14:15], v[10:11], v[44:45]
	v_add_f64 v[14:15], v[14:15], v[46:47]
	;; [unrolled: 1-line block ×3, first 2 shown]
	v_add_f64 v[22:23], v[66:67], -v[64:65]
	v_add_f64 v[26:27], v[68:69], -v[78:79]
	v_add_f64 v[18:19], v[14:15], v[56:57]
	v_add_f64 v[14:15], v[46:47], v[52:53]
	v_add_f64 v[22:23], v[22:23], v[26:27]
	v_fma_f64 v[14:15], -0.5, v[14:15], v[10:11]
	v_add_f64 v[64:65], v[64:65], -v[78:79]
	v_fmac_f64_e32 v[24:25], s[14:15], v[22:23]
	v_fmac_f64_e32 v[8:9], s[14:15], v[22:23]
	v_fma_f64 v[22:23], s[16:17], v[64:65], v[14:15]
	v_add_f64 v[66:67], v[66:67], -v[68:69]
	v_add_f64 v[26:27], v[44:45], -v[46:47]
	v_add_f64 v[68:69], v[56:57], -v[52:53]
	v_fmac_f64_e32 v[14:15], s[12:13], v[64:65]
	v_fmac_f64_e32 v[22:23], s[18:19], v[66:67]
	v_add_f64 v[26:27], v[26:27], v[68:69]
	v_fmac_f64_e32 v[14:15], s[2:3], v[66:67]
	v_fmac_f64_e32 v[22:23], s[14:15], v[26:27]
	v_fmac_f64_e32 v[14:15], s[14:15], v[26:27]
	v_add_f64 v[26:27], v[44:45], v[56:57]
	v_fmac_f64_e32 v[10:11], -0.5, v[26:27]
	v_add_f64 v[44:45], v[46:47], -v[44:45]
	v_add_f64 v[46:47], v[52:53], -v[56:57]
	v_fma_f64 v[26:27], s[12:13], v[66:67], v[10:11]
	v_add_f64 v[44:45], v[44:45], v[46:47]
	v_fmac_f64_e32 v[10:11], s[16:17], v[66:67]
	v_add_f64 v[46:47], v[38:39], v[40:41]
	v_fmac_f64_e32 v[26:27], s[18:19], v[64:65]
	v_fmac_f64_e32 v[10:11], s[2:3], v[64:65]
	v_fma_f64 v[64:65], -0.5, v[46:47], v[4:5]
	v_add_f64 v[46:47], v[28:29], -v[34:35]
	v_accvgpr_write_b32 a133, v87
	v_accvgpr_write_b32 a132, v86
	v_fma_f64 v[86:87], s[12:13], v[46:47], v[64:65]
	v_add_f64 v[52:53], v[30:31], -v[32:33]
	v_add_f64 v[56:57], v[36:37], -v[38:39]
	;; [unrolled: 1-line block ×3, first 2 shown]
	v_fmac_f64_e32 v[64:65], s[16:17], v[46:47]
	v_fmac_f64_e32 v[86:87], s[2:3], v[52:53]
	v_add_f64 v[56:57], v[56:57], v[66:67]
	v_fmac_f64_e32 v[64:65], s[18:19], v[52:53]
	v_fmac_f64_e32 v[86:87], s[14:15], v[56:57]
	;; [unrolled: 1-line block ×3, first 2 shown]
	v_add_f64 v[56:57], v[36:37], v[42:43]
	v_accvgpr_write_b32 a139, v93
	v_fmac_f64_e32 v[26:27], s[14:15], v[44:45]
	v_fmac_f64_e32 v[10:11], s[14:15], v[44:45]
	v_add_f64 v[44:45], v[4:5], v[36:37]
	v_fmac_f64_e32 v[4:5], -0.5, v[56:57]
	v_accvgpr_write_b32 a138, v92
	v_accvgpr_write_b32 a137, v91
	;; [unrolled: 1-line block ×3, first 2 shown]
	v_add_f64 v[44:45], v[44:45], v[38:39]
	v_fma_f64 v[90:91], s[16:17], v[52:53], v[4:5]
	v_add_f64 v[56:57], v[38:39], -v[36:37]
	v_add_f64 v[66:67], v[40:41], -v[42:43]
	v_fmac_f64_e32 v[4:5], s[12:13], v[52:53]
	v_add_f64 v[52:53], v[30:31], v[32:33]
	v_add_f64 v[44:45], v[44:45], v[40:41]
	;; [unrolled: 1-line block ×3, first 2 shown]
	v_fma_f64 v[66:67], -0.5, v[52:53], v[6:7]
	v_add_f64 v[36:37], v[36:37], -v[42:43]
	v_add_f64 v[44:45], v[44:45], v[42:43]
	v_fma_f64 v[88:89], s[16:17], v[36:37], v[66:67]
	v_add_f64 v[38:39], v[38:39], -v[40:41]
	v_add_f64 v[40:41], v[28:29], -v[30:31]
	;; [unrolled: 1-line block ×3, first 2 shown]
	v_fmac_f64_e32 v[66:67], s[12:13], v[36:37]
	v_fmac_f64_e32 v[90:91], s[2:3], v[46:47]
	;; [unrolled: 1-line block ×3, first 2 shown]
	v_add_f64 v[46:47], v[6:7], v[28:29]
	v_fmac_f64_e32 v[88:89], s[18:19], v[38:39]
	v_add_f64 v[40:41], v[40:41], v[42:43]
	v_fmac_f64_e32 v[66:67], s[2:3], v[38:39]
	;; [unrolled: 2-line block ×3, first 2 shown]
	v_fmac_f64_e32 v[66:67], s[14:15], v[40:41]
	v_add_f64 v[40:41], v[28:29], v[34:35]
	v_add_f64 v[28:29], v[30:31], -v[28:29]
	v_add_f64 v[30:31], v[32:33], -v[34:35]
	v_fmac_f64_e32 v[6:7], -0.5, v[40:41]
	v_add_f64 v[28:29], v[28:29], v[30:31]
	v_add_f64 v[30:31], v[76:77], v[80:81]
	;; [unrolled: 1-line block ×3, first 2 shown]
	v_fma_f64 v[92:93], s[12:13], v[38:39], v[6:7]
	v_fmac_f64_e32 v[6:7], s[16:17], v[38:39]
	v_fma_f64 v[32:33], -0.5, v[30:31], v[0:1]
	v_add_f64 v[30:31], v[54:55], -v[62:63]
	v_add_f64 v[46:47], v[46:47], v[34:35]
	v_fmac_f64_e32 v[92:93], s[18:19], v[36:37]
	v_fmac_f64_e32 v[6:7], s[2:3], v[36:37]
	v_fma_f64 v[36:37], s[12:13], v[30:31], v[32:33]
	v_add_f64 v[34:35], v[58:59], -v[60:61]
	v_add_f64 v[38:39], v[70:71], -v[76:77]
	v_add_f64 v[40:41], v[82:83], -v[80:81]
	v_fmac_f64_e32 v[32:33], s[16:17], v[30:31]
	v_fmac_f64_e32 v[36:37], s[2:3], v[34:35]
	v_add_f64 v[38:39], v[38:39], v[40:41]
	v_fmac_f64_e32 v[32:33], s[18:19], v[34:35]
	v_fmac_f64_e32 v[36:37], s[14:15], v[38:39]
	;; [unrolled: 1-line block ×3, first 2 shown]
	v_add_f64 v[38:39], v[70:71], v[82:83]
	v_fmac_f64_e32 v[92:93], s[14:15], v[28:29]
	v_fmac_f64_e32 v[6:7], s[14:15], v[28:29]
	v_add_f64 v[28:29], v[0:1], v[70:71]
	v_fmac_f64_e32 v[0:1], -0.5, v[38:39]
	v_fma_f64 v[40:41], s[16:17], v[34:35], v[0:1]
	v_add_f64 v[38:39], v[76:77], -v[70:71]
	v_add_f64 v[42:43], v[80:81], -v[82:83]
	v_fmac_f64_e32 v[0:1], s[12:13], v[34:35]
	v_add_f64 v[34:35], v[58:59], v[60:61]
	v_fmac_f64_e32 v[40:41], s[2:3], v[30:31]
	v_add_f64 v[38:39], v[38:39], v[42:43]
	v_fmac_f64_e32 v[0:1], s[18:19], v[30:31]
	v_fma_f64 v[34:35], -0.5, v[34:35], v[2:3]
	v_add_f64 v[52:53], v[70:71], -v[82:83]
	v_fmac_f64_e32 v[90:91], s[14:15], v[56:57]
	v_fmac_f64_e32 v[4:5], s[14:15], v[56:57]
	;; [unrolled: 1-line block ×4, first 2 shown]
	v_fma_f64 v[38:39], s[16:17], v[52:53], v[34:35]
	v_add_f64 v[56:57], v[76:77], -v[80:81]
	v_add_f64 v[42:43], v[54:55], -v[58:59]
	;; [unrolled: 1-line block ×3, first 2 shown]
	v_fmac_f64_e32 v[34:35], s[12:13], v[52:53]
	v_fmac_f64_e32 v[38:39], s[18:19], v[56:57]
	v_add_f64 v[42:43], v[42:43], v[68:69]
	v_fmac_f64_e32 v[34:35], s[2:3], v[56:57]
	v_fmac_f64_e32 v[38:39], s[14:15], v[42:43]
	;; [unrolled: 1-line block ×3, first 2 shown]
	v_add_f64 v[42:43], v[54:55], v[62:63]
	v_add_f64 v[30:31], v[2:3], v[54:55]
	v_fmac_f64_e32 v[2:3], -0.5, v[42:43]
	v_add_f64 v[30:31], v[30:31], v[58:59]
	v_fma_f64 v[42:43], s[12:13], v[56:57], v[2:3]
	v_add_f64 v[54:55], v[58:59], -v[54:55]
	v_add_f64 v[58:59], v[60:61], -v[62:63]
	v_fmac_f64_e32 v[2:3], s[16:17], v[56:57]
	v_fmac_f64_e32 v[42:43], s[18:19], v[52:53]
	v_add_f64 v[54:55], v[54:55], v[58:59]
	v_fmac_f64_e32 v[2:3], s[2:3], v[52:53]
	v_sub_co_u32_e64 v52, s[2:3], v74, v51
	v_add_f64 v[28:29], v[28:29], v[76:77]
	v_add_f64 v[30:31], v[30:31], v[60:61]
	v_fmac_f64_e32 v[42:43], s[14:15], v[54:55]
	v_fmac_f64_e32 v[2:3], s[14:15], v[54:55]
	v_subbrev_co_u32_e64 v53, s[2:3], 0, v75, s[2:3]
	s_mov_b64 s[12:13], 0x1ba0
	s_movk_i32 s14, 0x1000
	v_add_f64 v[28:29], v[28:29], v[80:81]
	v_add_f64 v[30:31], v[30:31], v[62:63]
	v_lshl_add_u64 v[62:63], v[52:53], 0, s[12:13]
	v_add_co_u32_e64 v52, s[2:3], s14, v52
	v_add_f64 v[28:29], v[28:29], v[82:83]
	ds_write_b128 v176, v[16:19]
	ds_write_b128 v176, v[20:23] offset:1456
	ds_write_b128 v176, v[24:27] offset:2912
	;; [unrolled: 1-line block ×9, first 2 shown]
	v_lshl_add_u32 v4, v84, 4, v177
	v_addc_co_u32_e64 v53, s[2:3], 0, v53, s[2:3]
	ds_write_b128 v4, v[28:31] offset:14560
	ds_write_b128 v4, v[36:39] offset:16016
	;; [unrolled: 1-line block ×4, first 2 shown]
	v_accvgpr_write_b32 a148, v4
	ds_write_b128 v4, v[32:35] offset:20384
	s_waitcnt lgkmcnt(0)
	s_barrier
	ds_read_b128 v[12:15], v176
	ds_read_b128 v[54:57], v176 offset:7280
	ds_read_b128 v[58:61], v176 offset:14560
	ds_read_b128 v[8:11], v176 offset:1456
	ds_read_b128 v[44:47], v176 offset:8736
	ds_read_b128 v[40:43], v176 offset:16016
	ds_read_b128 v[4:7], v176 offset:2912
	ds_read_b128 v[36:39], v176 offset:10192
	ds_read_b128 v[32:35], v176 offset:17472
	ds_read_b128 v[0:3], v176 offset:4368
	ds_read_b128 v[28:31], v176 offset:11648
	ds_read_b128 v[24:27], v176 offset:18928
	ds_read_b128 v[240:243], v176 offset:5824
	ds_read_b128 v[20:23], v176 offset:13104
	ds_read_b128 v[16:19], v176 offset:20384
	global_load_dwordx4 v[64:67], v[52:53], off offset:2976
	global_load_dwordx4 v[68:71], v[62:63], off offset:16
	s_waitcnt vmcnt(1) lgkmcnt(13)
	v_mul_f64 v[52:53], v[56:57], v[66:67]
	v_fma_f64 v[52:53], v[54:55], v[64:65], -v[52:53]
	v_mul_f64 v[54:55], v[54:55], v[66:67]
	v_fmac_f64_e32 v[54:55], v[56:57], v[64:65]
	s_waitcnt vmcnt(0) lgkmcnt(12)
	v_mul_f64 v[56:57], v[60:61], v[70:71]
	v_fma_f64 v[56:57], v[58:59], v[68:69], -v[56:57]
	v_mul_f64 v[58:59], v[58:59], v[70:71]
	v_fmac_f64_e32 v[58:59], v[60:61], v[68:69]
	v_lshl_add_u64 v[60:61], s[8:9], 0, v[72:73]
	v_lshl_add_u64 v[62:63], v[60:61], 0, s[12:13]
	v_add_co_u32_e64 v60, s[2:3], s14, v60
	v_accvgpr_write_b32 a153, v67
	s_nop 0
	v_addc_co_u32_e64 v61, s[2:3], 0, v61, s[2:3]
	v_accvgpr_write_b32 a152, v66
	v_accvgpr_write_b32 a151, v65
	;; [unrolled: 1-line block ×3, first 2 shown]
	global_load_dwordx4 v[64:67], v[60:61], off offset:2976
	global_load_dwordx4 v[74:77], v[62:63], off offset:16
	v_lshlrev_b32_e32 v72, 5, v50
	v_accvgpr_write_b32 a157, v71
	v_accvgpr_write_b32 a156, v70
	;; [unrolled: 1-line block ×4, first 2 shown]
	v_mov_b32_e32 v70, v188
	v_lshl_add_u32 v177, v70, 4, v177
	s_waitcnt vmcnt(1) lgkmcnt(10)
	v_mul_f64 v[60:61], v[46:47], v[66:67]
	v_fma_f64 v[60:61], v[44:45], v[64:65], -v[60:61]
	v_mul_f64 v[44:45], v[44:45], v[66:67]
	v_fmac_f64_e32 v[44:45], v[46:47], v[64:65]
	s_waitcnt vmcnt(0) lgkmcnt(9)
	v_mul_f64 v[46:47], v[42:43], v[76:77]
	v_fma_f64 v[46:47], v[40:41], v[74:75], -v[46:47]
	v_mul_f64 v[40:41], v[40:41], v[76:77]
	v_fmac_f64_e32 v[40:41], v[42:43], v[74:75]
	v_lshl_add_u64 v[42:43], s[8:9], 0, v[72:73]
	v_lshl_add_u64 v[62:63], v[42:43], 0, s[12:13]
	v_add_co_u32_e64 v42, s[2:3], s14, v42
	v_accvgpr_write_b32 a161, v67
	v_accvgpr_write_b32 a165, v77
	v_addc_co_u32_e64 v43, s[2:3], 0, v43, s[2:3]
	v_accvgpr_write_b32 a160, v66
	v_accvgpr_write_b32 a159, v65
	;; [unrolled: 1-line block ×6, first 2 shown]
	global_load_dwordx4 v[64:67], v[42:43], off offset:2976
	global_load_dwordx4 v[74:77], v[62:63], off offset:16
	v_add_u32_e32 v72, 0x2220, v51
	s_waitcnt vmcnt(1) lgkmcnt(7)
	v_mul_f64 v[42:43], v[38:39], v[66:67]
	v_fma_f64 v[42:43], v[36:37], v[64:65], -v[42:43]
	v_mul_f64 v[36:37], v[36:37], v[66:67]
	v_fmac_f64_e32 v[36:37], v[38:39], v[64:65]
	s_waitcnt vmcnt(0) lgkmcnt(6)
	v_mul_f64 v[38:39], v[34:35], v[76:77]
	v_fma_f64 v[38:39], v[32:33], v[74:75], -v[38:39]
	v_mul_f64 v[32:33], v[32:33], v[76:77]
	v_fmac_f64_e32 v[32:33], v[34:35], v[74:75]
	v_lshl_add_u64 v[34:35], s[8:9], 0, v[72:73]
	v_lshl_add_u64 v[62:63], v[34:35], 0, s[12:13]
	v_add_co_u32_e64 v34, s[2:3], s14, v34
	v_add_u32_e32 v72, 0x2d80, v51
	s_nop 0
	v_addc_co_u32_e64 v35, s[2:3], 0, v35, s[2:3]
	global_load_dwordx4 v[200:203], v[34:35], off offset:2976
	global_load_dwordx4 v[204:207], v[62:63], off offset:16
	v_accvgpr_write_b32 a169, v67
	v_accvgpr_write_b32 a168, v66
	;; [unrolled: 1-line block ×8, first 2 shown]
	s_waitcnt vmcnt(1) lgkmcnt(4)
	v_mul_f64 v[34:35], v[30:31], v[202:203]
	v_fma_f64 v[34:35], v[28:29], v[200:201], -v[34:35]
	v_mul_f64 v[28:29], v[28:29], v[202:203]
	v_fmac_f64_e32 v[28:29], v[30:31], v[200:201]
	s_waitcnt vmcnt(0) lgkmcnt(3)
	v_mul_f64 v[30:31], v[26:27], v[206:207]
	v_fma_f64 v[30:31], v[24:25], v[204:205], -v[30:31]
	v_mul_f64 v[24:25], v[24:25], v[206:207]
	v_fmac_f64_e32 v[24:25], v[26:27], v[204:205]
	v_lshl_add_u64 v[26:27], s[8:9], 0, v[72:73]
	v_lshl_add_u64 v[50:51], v[26:27], 0, s[12:13]
	v_add_co_u32_e64 v26, s[2:3], s14, v26
	s_mov_b32 s9, 0xbfebb67a
	s_nop 0
	v_addc_co_u32_e64 v27, s[2:3], 0, v27, s[2:3]
	global_load_dwordx4 v[208:211], v[26:27], off offset:2976
	global_load_dwordx4 v[212:215], v[50:51], off offset:16
	s_mov_b32 s2, 0xe8584caa
	s_mov_b32 s3, 0x3febb67a
	;; [unrolled: 1-line block ×3, first 2 shown]
	s_movk_i32 s12, 0x5000
	s_waitcnt vmcnt(1) lgkmcnt(1)
	v_mul_f64 v[26:27], v[22:23], v[210:211]
	s_waitcnt vmcnt(0) lgkmcnt(0)
	v_mul_f64 v[68:69], v[16:17], v[214:215]
	v_fma_f64 v[62:63], v[20:21], v[208:209], -v[26:27]
	v_mul_f64 v[64:65], v[20:21], v[210:211]
	v_mul_f64 v[20:21], v[18:19], v[214:215]
	v_fmac_f64_e32 v[68:69], v[18:19], v[212:213]
	v_add_f64 v[18:19], v[52:53], v[56:57]
	v_fmac_f64_e32 v[64:65], v[22:23], v[208:209]
	v_fma_f64 v[66:67], v[16:17], v[212:213], -v[20:21]
	v_add_f64 v[16:17], v[12:13], v[52:53]
	v_fmac_f64_e32 v[12:13], -0.5, v[18:19]
	v_add_f64 v[18:19], v[54:55], -v[58:59]
	v_add_f64 v[22:23], v[54:55], v[58:59]
	v_fma_f64 v[20:21], s[2:3], v[18:19], v[12:13]
	v_fmac_f64_e32 v[12:13], s[8:9], v[18:19]
	v_add_f64 v[18:19], v[14:15], v[54:55]
	v_fmac_f64_e32 v[14:15], -0.5, v[22:23]
	v_add_f64 v[26:27], v[52:53], -v[56:57]
	v_fma_f64 v[22:23], s[8:9], v[26:27], v[14:15]
	v_fmac_f64_e32 v[14:15], s[2:3], v[26:27]
	v_add_f64 v[26:27], v[8:9], v[60:61]
	v_add_f64 v[50:51], v[26:27], v[46:47]
	;; [unrolled: 1-line block ×3, first 2 shown]
	v_fmac_f64_e32 v[8:9], -0.5, v[26:27]
	v_add_f64 v[26:27], v[44:45], -v[40:41]
	v_fma_f64 v[54:55], s[2:3], v[26:27], v[8:9]
	v_fmac_f64_e32 v[8:9], s[8:9], v[26:27]
	v_add_f64 v[26:27], v[10:11], v[44:45]
	v_add_f64 v[52:53], v[26:27], v[40:41]
	;; [unrolled: 1-line block ×3, first 2 shown]
	v_fmac_f64_e32 v[10:11], -0.5, v[26:27]
	v_add_f64 v[26:27], v[60:61], -v[46:47]
	v_add_f64 v[16:17], v[16:17], v[56:57]
	v_fma_f64 v[56:57], s[8:9], v[26:27], v[10:11]
	v_fmac_f64_e32 v[10:11], s[2:3], v[26:27]
	v_add_f64 v[26:27], v[4:5], v[42:43]
	v_add_f64 v[44:45], v[26:27], v[38:39]
	v_add_f64 v[26:27], v[42:43], v[38:39]
	v_fmac_f64_e32 v[4:5], -0.5, v[26:27]
	v_add_f64 v[26:27], v[36:37], -v[32:33]
	v_fma_f64 v[40:41], s[2:3], v[26:27], v[4:5]
	v_fmac_f64_e32 v[4:5], s[8:9], v[26:27]
	v_add_f64 v[26:27], v[6:7], v[36:37]
	v_add_f64 v[46:47], v[26:27], v[32:33]
	v_add_f64 v[26:27], v[36:37], v[32:33]
	v_fmac_f64_e32 v[6:7], -0.5, v[26:27]
	v_add_f64 v[26:27], v[42:43], -v[38:39]
	;; [unrolled: 7-line block ×6, first 2 shown]
	v_add_f64 v[18:19], v[18:19], v[58:59]
	v_fma_f64 v[246:247], s[8:9], v[24:25], v[242:243]
	v_fmac_f64_e32 v[242:243], s[2:3], v[24:25]
	s_mov_b64 s[2:3], 0x5550
	ds_write_b128 v176, v[16:19]
	ds_write_b128 v177, v[20:23] offset:7280
	ds_write_b128 v177, v[12:15] offset:14560
	;; [unrolled: 1-line block ×14, first 2 shown]
	v_lshl_add_u64 v[4:5], v[48:49], 0, s[2:3]
	v_add_co_u32_e64 v6, s[2:3], s12, v48
	s_waitcnt lgkmcnt(0)
	s_nop 0
	v_addc_co_u32_e64 v7, s[2:3], 0, v49, s[2:3]
	s_barrier
	global_load_dwordx4 v[6:9], v[6:7], off offset:1360
	ds_read_b128 v[0:3], v176
	s_movk_i32 s2, 0x6000
	v_add_co_u32_e64 v14, s[2:3], s2, v48
	s_waitcnt vmcnt(0) lgkmcnt(0)
	v_mul_f64 v[10:11], v[2:3], v[8:9]
	v_mul_f64 v[12:13], v[0:1], v[8:9]
	v_fma_f64 v[10:11], v[0:1], v[6:7], -v[10:11]
	v_fmac_f64_e32 v[12:13], v[2:3], v[6:7]
	global_load_dwordx4 v[6:9], v[4:5], off offset:1680
	ds_read_b128 v[0:3], v176 offset:1680
	ds_write_b128 v176, v[10:13]
	v_addc_co_u32_e64 v15, s[2:3], 0, v49, s[2:3]
	s_movk_i32 s2, 0x7000
	s_waitcnt vmcnt(0) lgkmcnt(1)
	v_mul_f64 v[10:11], v[2:3], v[8:9]
	v_mul_f64 v[12:13], v[0:1], v[8:9]
	v_fma_f64 v[10:11], v[0:1], v[6:7], -v[10:11]
	v_fmac_f64_e32 v[12:13], v[2:3], v[6:7]
	global_load_dwordx4 v[6:9], v[4:5], off offset:3360
	ds_read_b128 v[0:3], v176 offset:3360
	ds_write_b128 v176, v[10:13] offset:1680
	s_waitcnt vmcnt(0) lgkmcnt(1)
	v_mul_f64 v[10:11], v[2:3], v[8:9]
	v_mul_f64 v[12:13], v[0:1], v[8:9]
	v_fma_f64 v[10:11], v[0:1], v[6:7], -v[10:11]
	v_fmac_f64_e32 v[12:13], v[2:3], v[6:7]
	global_load_dwordx4 v[6:9], v[14:15], off offset:2304
	ds_read_b128 v[0:3], v176 offset:5040
	ds_write_b128 v176, v[10:13] offset:3360
	s_waitcnt vmcnt(0) lgkmcnt(1)
	v_mul_f64 v[10:11], v[2:3], v[8:9]
	v_mul_f64 v[12:13], v[0:1], v[8:9]
	v_fma_f64 v[10:11], v[0:1], v[6:7], -v[10:11]
	v_fmac_f64_e32 v[12:13], v[2:3], v[6:7]
	global_load_dwordx4 v[6:9], v[14:15], off offset:3984
	ds_read_b128 v[0:3], v176 offset:6720
	v_add_co_u32_e64 v14, s[2:3], s2, v48
	ds_write_b128 v176, v[10:13] offset:5040
	s_nop 0
	v_addc_co_u32_e64 v15, s[2:3], 0, v49, s[2:3]
	s_mov_b32 s2, 0x8000
	s_waitcnt vmcnt(0) lgkmcnt(1)
	v_mul_f64 v[10:11], v[2:3], v[8:9]
	v_mul_f64 v[12:13], v[0:1], v[8:9]
	v_fma_f64 v[10:11], v[0:1], v[6:7], -v[10:11]
	v_fmac_f64_e32 v[12:13], v[2:3], v[6:7]
	global_load_dwordx4 v[6:9], v[14:15], off offset:1568
	ds_read_b128 v[0:3], v176 offset:8400
	ds_write_b128 v176, v[10:13] offset:6720
	s_waitcnt vmcnt(0) lgkmcnt(1)
	v_mul_f64 v[10:11], v[2:3], v[8:9]
	v_mul_f64 v[12:13], v[0:1], v[8:9]
	v_fma_f64 v[10:11], v[0:1], v[6:7], -v[10:11]
	v_fmac_f64_e32 v[12:13], v[2:3], v[6:7]
	global_load_dwordx4 v[6:9], v[14:15], off offset:3248
	ds_read_b128 v[0:3], v176 offset:10080
	v_add_co_u32_e64 v14, s[2:3], s2, v48
	ds_write_b128 v176, v[10:13] offset:8400
	s_nop 0
	v_addc_co_u32_e64 v15, s[2:3], 0, v49, s[2:3]
	s_mov_b32 s2, 0x9000
	;; [unrolled: 20-line block ×3, first 2 shown]
	s_waitcnt vmcnt(0) lgkmcnt(1)
	v_mul_f64 v[10:11], v[2:3], v[8:9]
	v_mul_f64 v[12:13], v[0:1], v[8:9]
	v_fma_f64 v[10:11], v[0:1], v[6:7], -v[10:11]
	v_fmac_f64_e32 v[12:13], v[2:3], v[6:7]
	global_load_dwordx4 v[6:9], v[14:15], off offset:96
	ds_read_b128 v[0:3], v176 offset:15120
	ds_write_b128 v176, v[10:13] offset:13440
	s_waitcnt vmcnt(0) lgkmcnt(1)
	v_mul_f64 v[10:11], v[2:3], v[8:9]
	v_mul_f64 v[12:13], v[0:1], v[8:9]
	v_fma_f64 v[10:11], v[0:1], v[6:7], -v[10:11]
	v_fmac_f64_e32 v[12:13], v[2:3], v[6:7]
	global_load_dwordx4 v[6:9], v[14:15], off offset:1776
	ds_read_b128 v[0:3], v176 offset:16800
	ds_write_b128 v176, v[10:13] offset:15120
	;; [unrolled: 8-line block ×3, first 2 shown]
	s_waitcnt vmcnt(0) lgkmcnt(1)
	v_mul_f64 v[10:11], v[2:3], v[8:9]
	v_mul_f64 v[12:13], v[0:1], v[8:9]
	v_fma_f64 v[10:11], v[0:1], v[6:7], -v[10:11]
	v_fmac_f64_e32 v[12:13], v[2:3], v[6:7]
	v_add_co_u32_e64 v6, s[2:3], s2, v48
	ds_read_b128 v[0:3], v176 offset:20160
	s_nop 0
	v_addc_co_u32_e64 v7, s[2:3], 0, v49, s[2:3]
	global_load_dwordx4 v[6:9], v[6:7], off offset:1040
	ds_write_b128 v176, v[10:13] offset:18480
	s_waitcnt vmcnt(0) lgkmcnt(1)
	v_mul_f64 v[10:11], v[2:3], v[8:9]
	v_mul_f64 v[12:13], v[0:1], v[8:9]
	v_fma_f64 v[10:11], v[0:1], v[6:7], -v[10:11]
	v_fmac_f64_e32 v[12:13], v[2:3], v[6:7]
	ds_write_b128 v176, v[10:13] offset:20160
	s_and_saveexec_b64 s[8:9], vcc
	s_cbranch_execz .LBB0_13
; %bb.12:
	global_load_dwordx4 v[6:9], v[4:5], off offset:1456
	ds_read_b128 v[0:3], v177 offset:1456
	v_add_co_u32_e64 v14, s[2:3], s14, v4
	s_waitcnt vmcnt(0) lgkmcnt(0)
	v_mul_f64 v[10:11], v[2:3], v[8:9]
	v_mul_f64 v[12:13], v[0:1], v[8:9]
	v_fma_f64 v[10:11], v[0:1], v[6:7], -v[10:11]
	v_fmac_f64_e32 v[12:13], v[2:3], v[6:7]
	global_load_dwordx4 v[6:9], v[4:5], off offset:3136
	ds_read_b128 v[0:3], v177 offset:3136
	ds_write_b128 v177, v[10:13] offset:1456
	v_addc_co_u32_e64 v15, s[2:3], 0, v5, s[2:3]
	s_movk_i32 s2, 0x2000
	s_waitcnt vmcnt(0) lgkmcnt(1)
	v_mul_f64 v[10:11], v[2:3], v[8:9]
	v_mul_f64 v[12:13], v[0:1], v[8:9]
	v_fma_f64 v[10:11], v[0:1], v[6:7], -v[10:11]
	v_fmac_f64_e32 v[12:13], v[2:3], v[6:7]
	global_load_dwordx4 v[6:9], v[14:15], off offset:720
	ds_read_b128 v[0:3], v177 offset:4816
	ds_write_b128 v177, v[10:13] offset:3136
	s_waitcnt vmcnt(0) lgkmcnt(1)
	v_mul_f64 v[10:11], v[2:3], v[8:9]
	v_mul_f64 v[12:13], v[0:1], v[8:9]
	v_fma_f64 v[10:11], v[0:1], v[6:7], -v[10:11]
	v_fmac_f64_e32 v[12:13], v[2:3], v[6:7]
	global_load_dwordx4 v[6:9], v[14:15], off offset:2400
	ds_read_b128 v[0:3], v177 offset:6496
	ds_write_b128 v177, v[10:13] offset:4816
	s_waitcnt vmcnt(0) lgkmcnt(1)
	v_mul_f64 v[10:11], v[2:3], v[8:9]
	v_mul_f64 v[12:13], v[0:1], v[8:9]
	v_fma_f64 v[10:11], v[0:1], v[6:7], -v[10:11]
	v_fmac_f64_e32 v[12:13], v[2:3], v[6:7]
	global_load_dwordx4 v[6:9], v[14:15], off offset:4080
	ds_read_b128 v[0:3], v177 offset:8176
	v_add_co_u32_e64 v14, s[2:3], s2, v4
	ds_write_b128 v177, v[10:13] offset:6496
	s_nop 0
	v_addc_co_u32_e64 v15, s[2:3], 0, v5, s[2:3]
	s_movk_i32 s2, 0x3000
	s_waitcnt vmcnt(0) lgkmcnt(1)
	v_mul_f64 v[10:11], v[2:3], v[8:9]
	v_mul_f64 v[12:13], v[0:1], v[8:9]
	v_fma_f64 v[10:11], v[0:1], v[6:7], -v[10:11]
	v_fmac_f64_e32 v[12:13], v[2:3], v[6:7]
	global_load_dwordx4 v[6:9], v[14:15], off offset:1664
	ds_read_b128 v[0:3], v177 offset:9856
	ds_write_b128 v177, v[10:13] offset:8176
	s_waitcnt vmcnt(0) lgkmcnt(1)
	v_mul_f64 v[10:11], v[2:3], v[8:9]
	v_mul_f64 v[12:13], v[0:1], v[8:9]
	v_fma_f64 v[10:11], v[0:1], v[6:7], -v[10:11]
	v_fmac_f64_e32 v[12:13], v[2:3], v[6:7]
	global_load_dwordx4 v[6:9], v[14:15], off offset:3344
	ds_read_b128 v[0:3], v177 offset:11536
	v_add_co_u32_e64 v14, s[2:3], s2, v4
	ds_write_b128 v177, v[10:13] offset:9856
	s_nop 0
	v_addc_co_u32_e64 v15, s[2:3], 0, v5, s[2:3]
	s_movk_i32 s2, 0x4000
	s_waitcnt vmcnt(0) lgkmcnt(1)
	v_mul_f64 v[10:11], v[2:3], v[8:9]
	v_mul_f64 v[12:13], v[0:1], v[8:9]
	v_fma_f64 v[10:11], v[0:1], v[6:7], -v[10:11]
	v_fmac_f64_e32 v[12:13], v[2:3], v[6:7]
	global_load_dwordx4 v[6:9], v[14:15], off offset:928
	ds_read_b128 v[0:3], v177 offset:13216
	ds_write_b128 v177, v[10:13] offset:11536
	s_waitcnt vmcnt(0) lgkmcnt(1)
	v_mul_f64 v[10:11], v[2:3], v[8:9]
	v_mul_f64 v[12:13], v[0:1], v[8:9]
	v_fma_f64 v[10:11], v[0:1], v[6:7], -v[10:11]
	v_fmac_f64_e32 v[12:13], v[2:3], v[6:7]
	global_load_dwordx4 v[6:9], v[14:15], off offset:2608
	ds_read_b128 v[0:3], v177 offset:14896
	v_add_co_u32_e64 v14, s[2:3], s2, v4
	ds_write_b128 v177, v[10:13] offset:13216
	s_nop 0
	v_addc_co_u32_e64 v15, s[2:3], 0, v5, s[2:3]
	v_add_co_u32_e64 v4, s[2:3], s12, v4
	s_waitcnt vmcnt(0) lgkmcnt(1)
	v_mul_f64 v[10:11], v[2:3], v[8:9]
	v_mul_f64 v[12:13], v[0:1], v[8:9]
	v_fma_f64 v[10:11], v[0:1], v[6:7], -v[10:11]
	v_fmac_f64_e32 v[12:13], v[2:3], v[6:7]
	global_load_dwordx4 v[6:9], v[14:15], off offset:192
	ds_read_b128 v[0:3], v177 offset:16576
	ds_write_b128 v177, v[10:13] offset:14896
	v_addc_co_u32_e64 v5, s[2:3], 0, v5, s[2:3]
	s_waitcnt vmcnt(0) lgkmcnt(1)
	v_mul_f64 v[10:11], v[2:3], v[8:9]
	v_mul_f64 v[12:13], v[0:1], v[8:9]
	v_fma_f64 v[10:11], v[0:1], v[6:7], -v[10:11]
	v_fmac_f64_e32 v[12:13], v[2:3], v[6:7]
	global_load_dwordx4 v[6:9], v[14:15], off offset:1872
	ds_read_b128 v[0:3], v177 offset:18256
	ds_write_b128 v177, v[10:13] offset:16576
	s_waitcnt vmcnt(0) lgkmcnt(1)
	v_mul_f64 v[10:11], v[2:3], v[8:9]
	v_mul_f64 v[12:13], v[0:1], v[8:9]
	v_fma_f64 v[10:11], v[0:1], v[6:7], -v[10:11]
	v_fmac_f64_e32 v[12:13], v[2:3], v[6:7]
	global_load_dwordx4 v[6:9], v[14:15], off offset:3552
	ds_read_b128 v[0:3], v177 offset:19936
	ds_write_b128 v177, v[10:13] offset:18256
	;; [unrolled: 8-line block ×3, first 2 shown]
	s_waitcnt vmcnt(0) lgkmcnt(1)
	v_mul_f64 v[8:9], v[2:3], v[6:7]
	v_mul_f64 v[10:11], v[0:1], v[6:7]
	v_fma_f64 v[8:9], v[0:1], v[4:5], -v[8:9]
	v_fmac_f64_e32 v[10:11], v[2:3], v[4:5]
	ds_write_b128 v177, v[8:11] offset:21616
.LBB0_13:
	s_or_b64 exec, exec, s[8:9]
	s_waitcnt lgkmcnt(0)
	s_barrier
	ds_read_b128 v[40:43], v176
	ds_read_b128 v[48:51], v176 offset:1680
	ds_read_b128 v[36:39], v176 offset:3360
	;; [unrolled: 1-line block ×12, first 2 shown]
	s_and_saveexec_b64 s[2:3], vcc
	s_cbranch_execz .LBB0_15
; %bb.14:
	ds_read_b128 v[244:247], v177 offset:1456
	ds_read_b128 v[240:243], v177 offset:3136
	;; [unrolled: 1-line block ×13, first 2 shown]
.LBB0_15:
	s_or_b64 exec, exec, s[2:3]
	s_waitcnt lgkmcnt(11)
	v_add_f64 v[4:5], v[40:41], v[48:49]
	v_add_f64 v[6:7], v[42:43], v[50:51]
	s_waitcnt lgkmcnt(10)
	v_add_f64 v[4:5], v[4:5], v[36:37]
	v_add_f64 v[6:7], v[6:7], v[38:39]
	;; [unrolled: 3-line block ×9, first 2 shown]
	s_waitcnt lgkmcnt(2)
	v_add_f64 v[4:5], v[4:5], v[32:33]
	s_mov_b32 s44, 0x4267c47c
	s_mov_b32 s36, 0x42a4c3d2
	;; [unrolled: 1-line block ×6, first 2 shown]
	v_add_f64 v[6:7], v[6:7], v[34:35]
	s_waitcnt lgkmcnt(1)
	v_add_f64 v[4:5], v[4:5], v[44:45]
	s_waitcnt lgkmcnt(0)
	v_add_f64 v[54:55], v[50:51], v[74:75]
	v_add_f64 v[50:51], v[50:51], -v[74:75]
	s_mov_b32 s45, 0xbfddbe06
	s_mov_b32 s2, 0xe00740e9
	;; [unrolled: 1-line block ×12, first 2 shown]
	v_add_f64 v[6:7], v[6:7], v[46:47]
	v_add_f64 v[4:5], v[4:5], v[72:73]
	v_add_f64 v[52:53], v[48:49], v[72:73]
	v_add_f64 v[48:49], v[48:49], -v[72:73]
	v_mul_f64 v[56:57], v[50:51], s[44:45]
	s_mov_b32 s3, 0x3fec55a7
	v_mul_f64 v[64:65], v[50:51], s[36:37]
	s_mov_b32 s9, 0x3fe22d96
	;; [unrolled: 2-line block ×6, first 2 shown]
	v_add_f64 v[6:7], v[6:7], v[74:75]
	v_fma_f64 v[58:59], s[2:3], v[52:53], v[56:57]
	v_fma_f64 v[56:57], v[52:53], s[2:3], -v[56:57]
	v_fma_f64 v[66:67], s[8:9], v[52:53], v[64:65]
	v_fma_f64 v[64:65], v[52:53], s[8:9], -v[64:65]
	;; [unrolled: 2-line block ×6, first 2 shown]
	v_add_f64 v[58:59], v[40:41], v[58:59]
	v_mul_f64 v[60:61], v[54:55], s[2:3]
	s_mov_b32 s29, 0x3fddbe06
	s_mov_b32 s28, s44
	v_add_f64 v[56:57], v[40:41], v[56:57]
	v_add_f64 v[66:67], v[40:41], v[66:67]
	v_mul_f64 v[68:69], v[54:55], s[8:9]
	s_mov_b32 s27, 0x3fea55e2
	s_mov_b32 s26, s36
	v_add_f64 v[64:65], v[40:41], v[64:65]
	;; [unrolled: 5-line block ×6, first 2 shown]
	v_add_f64 v[50:51], v[38:39], v[46:47]
	v_add_f64 v[38:39], v[38:39], -v[46:47]
	v_fma_f64 v[62:63], s[28:29], v[48:49], v[60:61]
	v_fmac_f64_e32 v[60:61], s[44:45], v[48:49]
	v_fma_f64 v[70:71], s[26:27], v[48:49], v[68:69]
	v_fmac_f64_e32 v[68:69], s[36:37], v[48:49]
	;; [unrolled: 2-line block ×6, first 2 shown]
	v_add_f64 v[48:49], v[36:37], v[44:45]
	v_add_f64 v[36:37], v[36:37], -v[44:45]
	v_mul_f64 v[44:45], v[38:39], s[36:37]
	v_fma_f64 v[46:47], s[8:9], v[48:49], v[44:45]
	v_mul_f64 v[52:53], v[50:51], s[8:9]
	v_fma_f64 v[44:45], v[48:49], s[8:9], -v[44:45]
	v_add_f64 v[62:63], v[42:43], v[62:63]
	v_add_f64 v[60:61], v[42:43], v[60:61]
	;; [unrolled: 1-line block ×12, first 2 shown]
	v_fma_f64 v[54:55], s[26:27], v[36:37], v[52:53]
	v_add_f64 v[44:45], v[44:45], v[56:57]
	v_fmac_f64_e32 v[52:53], s[36:37], v[36:37]
	v_mul_f64 v[56:57], v[38:39], s[24:25]
	v_add_f64 v[46:47], v[46:47], v[58:59]
	v_add_f64 v[52:53], v[52:53], v[60:61]
	v_fma_f64 v[58:59], s[16:17], v[48:49], v[56:57]
	v_mul_f64 v[60:61], v[50:51], s[16:17]
	v_fma_f64 v[56:57], v[48:49], s[16:17], -v[56:57]
	v_add_f64 v[54:55], v[54:55], v[62:63]
	v_fma_f64 v[62:63], s[38:39], v[36:37], v[60:61]
	v_add_f64 v[56:57], v[56:57], v[64:65]
	v_fmac_f64_e32 v[60:61], s[24:25], v[36:37]
	v_mul_f64 v[64:65], v[38:39], s[34:35]
	v_add_f64 v[58:59], v[58:59], v[66:67]
	v_add_f64 v[60:61], v[60:61], v[68:69]
	v_fma_f64 v[66:67], s[18:19], v[48:49], v[64:65]
	v_mul_f64 v[68:69], v[50:51], s[18:19]
	v_fma_f64 v[64:65], v[48:49], s[18:19], -v[64:65]
	v_add_f64 v[62:63], v[62:63], v[70:71]
	;; [unrolled: 10-line block ×3, first 2 shown]
	v_fma_f64 v[78:79], s[30:31], v[36:37], v[76:77]
	v_add_f64 v[72:73], v[72:73], v[80:81]
	v_fmac_f64_e32 v[76:77], s[42:43], v[36:37]
	v_mul_f64 v[80:81], v[38:39], s[20:21]
	v_add_f64 v[74:75], v[74:75], v[82:83]
	v_add_f64 v[76:77], v[76:77], v[84:85]
	v_fma_f64 v[82:83], s[12:13], v[48:49], v[80:81]
	v_mul_f64 v[84:85], v[50:51], s[12:13]
	v_mul_f64 v[50:51], v[50:51], s[2:3]
	v_add_f64 v[82:83], v[82:83], v[90:91]
	v_fma_f64 v[80:81], v[48:49], s[12:13], -v[80:81]
	v_mul_f64 v[38:39], v[38:39], s[28:29]
	v_fma_f64 v[90:91], s[44:45], v[36:37], v[50:51]
	v_fmac_f64_e32 v[50:51], s[28:29], v[36:37]
	v_add_f64 v[78:79], v[78:79], v[86:87]
	v_fma_f64 v[86:87], s[22:23], v[36:37], v[84:85]
	v_add_f64 v[80:81], v[80:81], v[88:89]
	v_fmac_f64_e32 v[84:85], s[20:21], v[36:37]
	v_fma_f64 v[88:89], s[2:3], v[48:49], v[38:39]
	v_fma_f64 v[38:39], v[48:49], s[2:3], -v[38:39]
	v_add_f64 v[36:37], v[50:51], v[42:43]
	v_add_f64 v[42:43], v[30:31], v[34:35]
	v_add_f64 v[30:31], v[30:31], -v[34:35]
	v_add_f64 v[38:39], v[38:39], v[40:41]
	v_add_f64 v[40:41], v[28:29], v[32:33]
	v_add_f64 v[28:29], v[28:29], -v[32:33]
	v_mul_f64 v[32:33], v[30:31], s[22:23]
	v_fma_f64 v[34:35], s[12:13], v[40:41], v[32:33]
	v_add_f64 v[34:35], v[34:35], v[46:47]
	v_mul_f64 v[46:47], v[42:43], s[12:13]
	v_fma_f64 v[48:49], s[20:21], v[28:29], v[46:47]
	v_fma_f64 v[32:33], v[40:41], s[12:13], -v[32:33]
	v_fmac_f64_e32 v[46:47], s[22:23], v[28:29]
	v_add_f64 v[32:33], v[32:33], v[44:45]
	v_add_f64 v[44:45], v[46:47], v[52:53]
	v_mul_f64 v[46:47], v[30:31], s[34:35]
	v_fma_f64 v[50:51], s[18:19], v[40:41], v[46:47]
	v_fma_f64 v[46:47], v[40:41], s[18:19], -v[46:47]
	v_mul_f64 v[52:53], v[42:43], s[18:19]
	v_add_f64 v[46:47], v[46:47], v[56:57]
	v_mul_f64 v[56:57], v[30:31], s[38:39]
	v_add_f64 v[48:49], v[48:49], v[54:55]
	v_add_f64 v[50:51], v[50:51], v[58:59]
	v_fma_f64 v[54:55], s[40:41], v[28:29], v[52:53]
	v_fmac_f64_e32 v[52:53], s[34:35], v[28:29]
	v_fma_f64 v[58:59], s[16:17], v[40:41], v[56:57]
	v_fma_f64 v[56:57], v[40:41], s[16:17], -v[56:57]
	v_add_f64 v[52:53], v[52:53], v[60:61]
	v_mul_f64 v[60:61], v[42:43], s[16:17]
	v_add_f64 v[56:57], v[56:57], v[64:65]
	v_mul_f64 v[64:65], v[30:31], s[28:29]
	v_add_f64 v[54:55], v[54:55], v[62:63]
	v_add_f64 v[58:59], v[58:59], v[66:67]
	v_fma_f64 v[62:63], s[24:25], v[28:29], v[60:61]
	v_fmac_f64_e32 v[60:61], s[38:39], v[28:29]
	v_fma_f64 v[66:67], s[2:3], v[40:41], v[64:65]
	v_fma_f64 v[64:65], v[40:41], s[2:3], -v[64:65]
	v_add_f64 v[60:61], v[60:61], v[68:69]
	v_mul_f64 v[68:69], v[42:43], s[2:3]
	v_add_f64 v[64:65], v[64:65], v[72:73]
	v_mul_f64 v[72:73], v[30:31], s[36:37]
	v_add_f64 v[62:63], v[62:63], v[70:71]
	v_add_f64 v[66:67], v[66:67], v[74:75]
	v_fma_f64 v[70:71], s[44:45], v[28:29], v[68:69]
	v_fmac_f64_e32 v[68:69], s[28:29], v[28:29]
	v_fma_f64 v[74:75], s[8:9], v[40:41], v[72:73]
	v_fma_f64 v[72:73], v[40:41], s[8:9], -v[72:73]
	v_mul_f64 v[30:31], v[30:31], s[30:31]
	v_add_f64 v[68:69], v[68:69], v[76:77]
	v_mul_f64 v[76:77], v[42:43], s[8:9]
	v_add_f64 v[72:73], v[72:73], v[80:81]
	v_fma_f64 v[80:81], s[14:15], v[40:41], v[30:31]
	v_mul_f64 v[42:43], v[42:43], s[14:15]
	v_fma_f64 v[30:31], v[40:41], s[14:15], -v[30:31]
	v_add_f64 v[74:75], v[74:75], v[82:83]
	v_fma_f64 v[82:83], s[42:43], v[28:29], v[42:43]
	v_add_f64 v[30:31], v[30:31], v[38:39]
	v_fmac_f64_e32 v[42:43], s[30:31], v[28:29]
	v_add_f64 v[38:39], v[22:23], v[26:27]
	v_add_f64 v[22:23], v[22:23], -v[26:27]
	v_add_f64 v[70:71], v[70:71], v[78:79]
	v_fma_f64 v[78:79], s[26:27], v[28:29], v[76:77]
	v_fmac_f64_e32 v[76:77], s[36:37], v[28:29]
	v_add_f64 v[28:29], v[42:43], v[36:37]
	v_add_f64 v[36:37], v[20:21], v[24:25]
	v_add_f64 v[20:21], v[20:21], -v[24:25]
	v_mul_f64 v[24:25], v[22:23], s[24:25]
	v_fma_f64 v[26:27], s[16:17], v[36:37], v[24:25]
	v_add_f64 v[26:27], v[26:27], v[34:35]
	v_mul_f64 v[34:35], v[38:39], s[16:17]
	v_fma_f64 v[40:41], s[38:39], v[20:21], v[34:35]
	v_fma_f64 v[24:25], v[36:37], s[16:17], -v[24:25]
	v_fmac_f64_e32 v[34:35], s[24:25], v[20:21]
	v_add_f64 v[24:25], v[24:25], v[32:33]
	v_add_f64 v[32:33], v[34:35], v[44:45]
	v_mul_f64 v[34:35], v[22:23], s[42:43]
	v_fma_f64 v[42:43], s[14:15], v[36:37], v[34:35]
	v_fma_f64 v[34:35], v[36:37], s[14:15], -v[34:35]
	v_mul_f64 v[44:45], v[38:39], s[14:15]
	v_add_f64 v[34:35], v[34:35], v[46:47]
	v_mul_f64 v[46:47], v[22:23], s[28:29]
	v_add_f64 v[40:41], v[40:41], v[48:49]
	v_add_f64 v[42:43], v[42:43], v[50:51]
	v_fma_f64 v[48:49], s[30:31], v[20:21], v[44:45]
	v_fmac_f64_e32 v[44:45], s[42:43], v[20:21]
	v_fma_f64 v[50:51], s[2:3], v[36:37], v[46:47]
	v_fma_f64 v[46:47], v[36:37], s[2:3], -v[46:47]
	v_add_f64 v[44:45], v[44:45], v[52:53]
	v_mul_f64 v[52:53], v[38:39], s[2:3]
	v_add_f64 v[46:47], v[46:47], v[56:57]
	v_mul_f64 v[56:57], v[22:23], s[22:23]
	v_add_f64 v[48:49], v[48:49], v[54:55]
	v_add_f64 v[50:51], v[50:51], v[58:59]
	v_fma_f64 v[54:55], s[44:45], v[20:21], v[52:53]
	v_fmac_f64_e32 v[52:53], s[28:29], v[20:21]
	v_fma_f64 v[58:59], s[12:13], v[36:37], v[56:57]
	v_fma_f64 v[56:57], v[36:37], s[12:13], -v[56:57]
	v_add_f64 v[52:53], v[52:53], v[60:61]
	v_mul_f64 v[60:61], v[38:39], s[12:13]
	v_add_f64 v[56:57], v[56:57], v[64:65]
	v_mul_f64 v[64:65], v[22:23], s[40:41]
	v_add_f64 v[54:55], v[54:55], v[62:63]
	v_add_f64 v[58:59], v[58:59], v[66:67]
	v_fma_f64 v[62:63], s[20:21], v[20:21], v[60:61]
	v_fmac_f64_e32 v[60:61], s[22:23], v[20:21]
	v_fma_f64 v[66:67], s[18:19], v[36:37], v[64:65]
	v_fma_f64 v[64:65], v[36:37], s[18:19], -v[64:65]
	v_mul_f64 v[22:23], v[22:23], s[26:27]
	v_add_f64 v[60:61], v[60:61], v[68:69]
	v_mul_f64 v[68:69], v[38:39], s[18:19]
	v_add_f64 v[64:65], v[64:65], v[72:73]
	v_fma_f64 v[72:73], s[8:9], v[36:37], v[22:23]
	v_mul_f64 v[38:39], v[38:39], s[8:9]
	v_fma_f64 v[22:23], v[36:37], s[8:9], -v[22:23]
	v_add_f64 v[66:67], v[66:67], v[74:75]
	v_fma_f64 v[74:75], s[36:37], v[20:21], v[38:39]
	v_add_f64 v[22:23], v[22:23], v[30:31]
	v_fmac_f64_e32 v[38:39], s[26:27], v[20:21]
	v_add_f64 v[30:31], v[14:15], v[18:19]
	v_add_f64 v[14:15], v[14:15], -v[18:19]
	v_add_f64 v[62:63], v[62:63], v[70:71]
	v_fma_f64 v[70:71], s[34:35], v[20:21], v[68:69]
	v_fmac_f64_e32 v[68:69], s[40:41], v[20:21]
	v_add_f64 v[20:21], v[38:39], v[28:29]
	v_add_f64 v[28:29], v[12:13], v[16:17]
	v_add_f64 v[12:13], v[12:13], -v[16:17]
	v_mul_f64 v[16:17], v[14:15], s[30:31]
	v_fma_f64 v[18:19], s[14:15], v[28:29], v[16:17]
	v_add_f64 v[18:19], v[18:19], v[26:27]
	v_mul_f64 v[26:27], v[30:31], s[14:15]
	v_fma_f64 v[16:17], v[28:29], s[14:15], -v[16:17]
	v_fma_f64 v[36:37], s[42:43], v[12:13], v[26:27]
	v_add_f64 v[16:17], v[16:17], v[24:25]
	v_fmac_f64_e32 v[26:27], s[30:31], v[12:13]
	v_mul_f64 v[24:25], v[14:15], s[20:21]
	v_add_f64 v[26:27], v[26:27], v[32:33]
	v_fma_f64 v[32:33], s[12:13], v[28:29], v[24:25]
	v_add_f64 v[38:39], v[32:33], v[42:43]
	v_mul_f64 v[32:33], v[30:31], s[12:13]
	v_add_f64 v[36:37], v[36:37], v[40:41]
	v_fma_f64 v[40:41], s[22:23], v[12:13], v[32:33]
	v_fma_f64 v[24:25], v[28:29], s[12:13], -v[24:25]
	v_add_f64 v[42:43], v[40:41], v[48:49]
	v_add_f64 v[48:49], v[24:25], v[34:35]
	v_fmac_f64_e32 v[32:33], s[20:21], v[12:13]
	v_mul_f64 v[24:25], v[14:15], s[36:37]
	v_add_f64 v[44:45], v[32:33], v[44:45]
	v_fma_f64 v[32:33], s[8:9], v[28:29], v[24:25]
	v_add_f64 v[50:51], v[32:33], v[50:51]
	v_mul_f64 v[32:33], v[30:31], s[8:9]
	v_fma_f64 v[24:25], v[28:29], s[8:9], -v[24:25]
	v_fma_f64 v[34:35], s[26:27], v[12:13], v[32:33]
	v_add_f64 v[46:47], v[24:25], v[46:47]
	v_fmac_f64_e32 v[32:33], s[36:37], v[12:13]
	v_mul_f64 v[24:25], v[14:15], s[40:41]
	v_add_f64 v[52:53], v[32:33], v[52:53]
	v_fma_f64 v[32:33], s[18:19], v[28:29], v[24:25]
	v_add_f64 v[58:59], v[32:33], v[58:59]
	v_mul_f64 v[32:33], v[30:31], s[18:19]
	v_fma_f64 v[24:25], v[28:29], s[18:19], -v[24:25]
	v_add_f64 v[88:89], v[88:89], v[96:97]
	v_add_f64 v[54:55], v[34:35], v[54:55]
	v_fma_f64 v[34:35], s[34:35], v[12:13], v[32:33]
	v_add_f64 v[56:57], v[24:25], v[56:57]
	v_fmac_f64_e32 v[32:33], s[40:41], v[12:13]
	v_mul_f64 v[24:25], v[14:15], s[28:29]
	v_add_f64 v[80:81], v[80:81], v[88:89]
	v_add_f64 v[60:61], v[32:33], v[60:61]
	v_fma_f64 v[32:33], s[2:3], v[28:29], v[24:25]
	v_fma_f64 v[24:25], v[28:29], s[2:3], -v[24:25]
	v_mul_f64 v[14:15], v[14:15], s[24:25]
	v_add_f64 v[84:85], v[84:85], v[92:93]
	v_add_f64 v[72:73], v[72:73], v[80:81]
	;; [unrolled: 1-line block ×3, first 2 shown]
	v_fma_f64 v[24:25], s[16:17], v[28:29], v[14:15]
	v_add_f64 v[76:77], v[76:77], v[84:85]
	v_add_f64 v[84:85], v[24:25], v[72:73]
	v_mul_f64 v[24:25], v[30:31], s[16:17]
	v_fma_f64 v[14:15], v[28:29], s[16:17], -v[14:15]
	v_add_f64 v[66:67], v[32:33], v[66:67]
	v_mul_f64 v[32:33], v[30:31], s[2:3]
	v_fma_f64 v[30:31], s[38:39], v[12:13], v[24:25]
	v_add_f64 v[14:15], v[14:15], v[22:23]
	v_fmac_f64_e32 v[24:25], s[24:25], v[12:13]
	v_add_f64 v[22:23], v[2:3], v[10:11]
	v_add_f64 v[2:3], v[2:3], -v[10:11]
	v_add_f64 v[62:63], v[34:35], v[62:63]
	v_fma_f64 v[34:35], s[44:45], v[12:13], v[32:33]
	v_fmac_f64_e32 v[32:33], s[28:29], v[12:13]
	v_add_f64 v[12:13], v[24:25], v[20:21]
	v_add_f64 v[20:21], v[0:1], v[8:9]
	v_add_f64 v[0:1], v[0:1], -v[8:9]
	v_mul_f64 v[8:9], v[2:3], s[34:35]
	v_add_f64 v[68:69], v[68:69], v[76:77]
	v_fma_f64 v[10:11], s[18:19], v[20:21], v[8:9]
	v_add_f64 v[68:69], v[32:33], v[68:69]
	v_add_f64 v[32:33], v[10:11], v[18:19]
	v_mul_f64 v[10:11], v[22:23], s[18:19]
	v_fma_f64 v[8:9], v[20:21], s[18:19], -v[8:9]
	v_fma_f64 v[18:19], s[40:41], v[0:1], v[10:11]
	v_add_f64 v[24:25], v[8:9], v[16:17]
	v_fmac_f64_e32 v[10:11], s[34:35], v[0:1]
	v_mul_f64 v[8:9], v[2:3], s[28:29]
	v_add_f64 v[90:91], v[90:91], v[98:99]
	v_add_f64 v[26:27], v[10:11], v[26:27]
	v_fma_f64 v[10:11], s[2:3], v[20:21], v[8:9]
	v_add_f64 v[82:83], v[82:83], v[90:91]
	v_add_f64 v[40:41], v[10:11], v[38:39]
	v_mul_f64 v[10:11], v[22:23], s[2:3]
	v_fma_f64 v[8:9], v[20:21], s[2:3], -v[8:9]
	v_add_f64 v[86:87], v[86:87], v[94:95]
	v_add_f64 v[74:75], v[74:75], v[82:83]
	v_fma_f64 v[16:17], s[44:45], v[0:1], v[10:11]
	v_add_f64 v[28:29], v[8:9], v[48:49]
	v_fmac_f64_e32 v[10:11], s[28:29], v[0:1]
	v_mul_f64 v[8:9], v[2:3], s[30:31]
	v_add_f64 v[78:79], v[78:79], v[86:87]
	v_add_f64 v[86:87], v[30:31], v[74:75]
	v_add_f64 v[30:31], v[10:11], v[44:45]
	v_fma_f64 v[10:11], s[14:15], v[20:21], v[8:9]
	v_add_f64 v[70:71], v[70:71], v[78:79]
	v_add_f64 v[48:49], v[10:11], v[50:51]
	v_mul_f64 v[10:11], v[22:23], s[14:15]
	v_fma_f64 v[8:9], v[20:21], s[14:15], -v[8:9]
	v_add_f64 v[70:71], v[34:35], v[70:71]
	v_add_f64 v[34:35], v[18:19], v[36:37]
	v_add_f64 v[42:43], v[16:17], v[42:43]
	v_fma_f64 v[16:17], s[42:43], v[0:1], v[10:11]
	v_add_f64 v[36:37], v[8:9], v[46:47]
	v_fmac_f64_e32 v[10:11], s[30:31], v[0:1]
	v_mul_f64 v[8:9], v[2:3], s[26:27]
	v_add_f64 v[38:39], v[10:11], v[52:53]
	v_fma_f64 v[10:11], s[8:9], v[20:21], v[8:9]
	v_add_f64 v[72:73], v[10:11], v[58:59]
	v_mul_f64 v[10:11], v[22:23], s[8:9]
	v_fma_f64 v[8:9], v[20:21], s[8:9], -v[8:9]
	v_add_f64 v[50:51], v[16:17], v[54:55]
	v_fma_f64 v[16:17], s[36:37], v[0:1], v[10:11]
	v_add_f64 v[44:45], v[8:9], v[56:57]
	v_fmac_f64_e32 v[10:11], s[26:27], v[0:1]
	v_mul_f64 v[8:9], v[2:3], s[24:25]
	v_add_f64 v[46:47], v[10:11], v[60:61]
	v_fma_f64 v[10:11], s[16:17], v[20:21], v[8:9]
	v_fma_f64 v[8:9], v[20:21], s[16:17], -v[8:9]
	v_mul_f64 v[2:3], v[2:3], s[20:21]
	v_add_f64 v[76:77], v[8:9], v[64:65]
	v_fma_f64 v[8:9], s[12:13], v[20:21], v[2:3]
	v_fma_f64 v[2:3], v[20:21], s[12:13], -v[2:3]
	v_accvgpr_write_b32 a177, v7
	v_add_f64 v[80:81], v[10:11], v[66:67]
	v_mul_f64 v[10:11], v[22:23], s[16:17]
	v_add_f64 v[88:89], v[2:3], v[14:15]
	v_add_f64 v[2:3], v[242:243], -v[198:199]
	v_accvgpr_write_b32 a176, v6
	v_accvgpr_write_b32 a175, v5
	;; [unrolled: 1-line block ×3, first 2 shown]
	v_add_f64 v[74:75], v[16:17], v[62:63]
	v_fma_f64 v[16:17], s[38:39], v[0:1], v[10:11]
	v_fmac_f64_e32 v[10:11], s[24:25], v[0:1]
	v_add_f64 v[84:85], v[8:9], v[84:85]
	v_mul_f64 v[8:9], v[22:23], s[12:13]
	v_mul_f64 v[4:5], v[2:3], s[44:45]
	v_add_f64 v[78:79], v[10:11], v[68:69]
	v_fma_f64 v[10:11], s[22:23], v[0:1], v[8:9]
	v_fmac_f64_e32 v[8:9], s[20:21], v[0:1]
	v_add_f64 v[64:65], v[240:241], v[196:197]
	v_add_f64 v[0:1], v[240:241], -v[196:197]
	v_accvgpr_write_b32 a179, v5
	v_add_f64 v[90:91], v[8:9], v[12:13]
	v_accvgpr_write_b32 a178, v4
	v_fma_f64 v[8:9], s[2:3], v[64:65], v[4:5]
	v_mul_f64 v[4:5], v[0:1], s[44:45]
	v_add_f64 v[66:67], v[242:243], v[198:199]
	v_accvgpr_write_b32 a181, v5
	v_add_f64 v[86:87], v[10:11], v[86:87]
	v_accvgpr_write_b32 a180, v4
	v_fma_f64 v[10:11], v[66:67], s[2:3], -v[4:5]
	v_mul_f64 v[4:5], v[2:3], s[36:37]
	v_accvgpr_write_b32 a183, v5
	v_accvgpr_write_b32 a182, v4
	v_fma_f64 v[12:13], s[8:9], v[64:65], v[4:5]
	v_mul_f64 v[4:5], v[0:1], s[36:37]
	v_accvgpr_write_b32 a185, v5
	v_accvgpr_write_b32 a184, v4
	v_fma_f64 v[14:15], v[66:67], s[8:9], -v[4:5]
	v_mul_f64 v[4:5], v[2:3], s[22:23]
	v_accvgpr_write_b32 a187, v5
	v_add_f64 v[82:83], v[16:17], v[70:71]
	v_accvgpr_write_b32 a186, v4
	v_fma_f64 v[16:17], s[12:13], v[64:65], v[4:5]
	v_mul_f64 v[4:5], v[0:1], s[22:23]
	v_accvgpr_write_b32 a189, v5
	v_accvgpr_write_b32 a188, v4
	v_fma_f64 v[18:19], v[66:67], s[12:13], -v[4:5]
	v_mul_f64 v[4:5], v[2:3], s[24:25]
	v_accvgpr_write_b32 a193, v5
	v_accvgpr_write_b32 a192, v4
	v_fma_f64 v[20:21], s[16:17], v[64:65], v[4:5]
	v_mul_f64 v[4:5], v[0:1], s[24:25]
	v_accvgpr_write_b32 a201, v5
	v_accvgpr_write_b32 a200, v4
	v_fma_f64 v[22:23], v[66:67], s[16:17], -v[4:5]
	v_mul_f64 v[4:5], v[2:3], s[30:31]
	v_accvgpr_write_b32 a207, v5
	v_accvgpr_write_b32 a206, v4
	v_fma_f64 v[52:53], s[14:15], v[64:65], v[4:5]
	v_mul_f64 v[4:5], v[0:1], s[30:31]
	v_accvgpr_write_b32 a215, v5
	v_mul_f64 v[58:59], v[66:67], s[18:19]
	v_add_f64 v[62:63], v[218:219], -v[166:167]
	v_accvgpr_write_b32 a214, v4
	v_fma_f64 v[54:55], v[66:67], s[14:15], -v[4:5]
	v_fma_f64 v[60:61], s[40:41], v[0:1], v[58:59]
	v_fmac_f64_e32 v[58:59], s[34:35], v[0:1]
	v_mul_f64 v[4:5], v[62:63], s[36:37]
	v_add_f64 v[0:1], v[246:247], v[58:59]
	v_add_f64 v[108:109], v[216:217], v[164:165]
	v_add_f64 v[58:59], v[216:217], -v[164:165]
	v_accvgpr_write_b32 a191, v5
	v_accvgpr_write_b32 a190, v4
	v_fma_f64 v[70:71], s[8:9], v[108:109], v[4:5]
	v_mul_f64 v[4:5], v[58:59], s[36:37]
	v_add_f64 v[8:9], v[244:245], v[8:9]
	v_add_f64 v[68:69], v[218:219], v[166:167]
	v_accvgpr_write_b32 a195, v5
	v_add_f64 v[8:9], v[70:71], v[8:9]
	v_accvgpr_write_b32 a194, v4
	v_fma_f64 v[70:71], v[68:69], s[8:9], -v[4:5]
	v_mul_f64 v[4:5], v[62:63], s[24:25]
	v_add_f64 v[10:11], v[246:247], v[10:11]
	v_accvgpr_write_b32 a197, v5
	v_add_f64 v[10:11], v[70:71], v[10:11]
	v_accvgpr_write_b32 a196, v4
	v_fma_f64 v[70:71], s[16:17], v[108:109], v[4:5]
	v_mul_f64 v[4:5], v[58:59], s[24:25]
	v_add_f64 v[12:13], v[244:245], v[12:13]
	v_accvgpr_write_b32 a199, v5
	v_add_f64 v[12:13], v[70:71], v[12:13]
	v_accvgpr_write_b32 a198, v4
	v_fma_f64 v[70:71], v[68:69], s[16:17], -v[4:5]
	v_mul_f64 v[4:5], v[62:63], s[34:35]
	v_add_f64 v[14:15], v[246:247], v[14:15]
	v_accvgpr_write_b32 a203, v5
	v_add_f64 v[14:15], v[70:71], v[14:15]
	v_accvgpr_write_b32 a202, v4
	v_fma_f64 v[70:71], s[18:19], v[108:109], v[4:5]
	v_mul_f64 v[4:5], v[58:59], s[34:35]
	;; [unrolled: 12-line block ×3, first 2 shown]
	v_add_f64 v[20:21], v[244:245], v[20:21]
	v_accvgpr_write_b32 a219, v5
	v_add_f64 v[20:21], v[70:71], v[20:21]
	v_accvgpr_write_b32 a218, v4
	v_fma_f64 v[70:71], v[68:69], s[14:15], -v[4:5]
	v_mul_f64 v[4:5], v[62:63], s[20:21]
	v_add_f64 v[22:23], v[246:247], v[22:23]
	v_accvgpr_write_b32 a227, v5
	v_add_f64 v[52:53], v[244:245], v[52:53]
	v_mul_f64 v[2:3], v[2:3], s[34:35]
	v_add_f64 v[22:23], v[70:71], v[22:23]
	v_accvgpr_write_b32 a226, v4
	v_fma_f64 v[70:71], s[12:13], v[108:109], v[4:5]
	v_mul_f64 v[4:5], v[58:59], s[20:21]
	v_add_f64 v[54:55], v[246:247], v[54:55]
	v_fma_f64 v[56:57], s[18:19], v[64:65], v[2:3]
	v_fma_f64 v[2:3], v[64:65], s[18:19], -v[2:3]
	v_add_f64 v[52:53], v[70:71], v[52:53]
	v_fma_f64 v[70:71], v[68:69], s[12:13], -v[4:5]
	v_mul_f64 v[62:63], v[62:63], s[28:29]
	v_add_f64 v[2:3], v[244:245], v[2:3]
	v_add_f64 v[54:55], v[70:71], v[54:55]
	v_fma_f64 v[70:71], s[2:3], v[108:109], v[62:63]
	v_fma_f64 v[62:63], v[108:109], s[2:3], -v[62:63]
	v_add_f64 v[56:57], v[244:245], v[56:57]
	v_accvgpr_write_b32 a233, v5
	v_add_f64 v[2:3], v[62:63], v[2:3]
	v_add_f64 v[62:63], v[222:223], -v[170:171]
	v_accvgpr_write_b32 a232, v4
	v_add_f64 v[56:57], v[70:71], v[56:57]
	v_mul_f64 v[70:71], v[68:69], s[2:3]
	v_mul_f64 v[4:5], v[62:63], s[22:23]
	v_fma_f64 v[92:93], s[44:45], v[58:59], v[70:71]
	v_fmac_f64_e32 v[70:71], s[28:29], v[58:59]
	v_add_f64 v[100:101], v[220:221], v[168:169]
	v_add_f64 v[58:59], v[220:221], -v[168:169]
	v_accvgpr_write_b32 a209, v5
	v_add_f64 v[0:1], v[70:71], v[0:1]
	v_accvgpr_write_b32 a208, v4
	v_fma_f64 v[70:71], s[12:13], v[100:101], v[4:5]
	v_mul_f64 v[4:5], v[58:59], s[22:23]
	v_add_f64 v[102:103], v[222:223], v[170:171]
	v_accvgpr_write_b32 a213, v5
	v_add_f64 v[8:9], v[70:71], v[8:9]
	v_accvgpr_write_b32 a212, v4
	v_fma_f64 v[70:71], v[102:103], s[12:13], -v[4:5]
	v_mul_f64 v[4:5], v[62:63], s[34:35]
	v_accvgpr_write_b32 a217, v5
	v_add_f64 v[10:11], v[70:71], v[10:11]
	v_accvgpr_write_b32 a216, v4
	v_fma_f64 v[70:71], s[18:19], v[100:101], v[4:5]
	v_mul_f64 v[4:5], v[58:59], s[34:35]
	v_accvgpr_write_b32 a221, v5
	v_add_f64 v[12:13], v[70:71], v[12:13]
	v_accvgpr_write_b32 a220, v4
	v_fma_f64 v[70:71], v[102:103], s[18:19], -v[4:5]
	v_mul_f64 v[4:5], v[62:63], s[38:39]
	v_accvgpr_write_b32 a223, v5
	v_add_f64 v[14:15], v[70:71], v[14:15]
	v_accvgpr_write_b32 a222, v4
	v_fma_f64 v[70:71], s[16:17], v[100:101], v[4:5]
	v_mul_f64 v[4:5], v[58:59], s[38:39]
	v_accvgpr_write_b32 a225, v5
	v_add_f64 v[16:17], v[70:71], v[16:17]
	v_accvgpr_write_b32 a224, v4
	v_fma_f64 v[70:71], v[102:103], s[16:17], -v[4:5]
	v_mul_f64 v[4:5], v[62:63], s[28:29]
	v_add_f64 v[18:19], v[70:71], v[18:19]
	v_fma_f64 v[70:71], s[2:3], v[100:101], v[4:5]
	v_mul_f64 v[106:107], v[58:59], s[28:29]
	v_add_f64 v[20:21], v[70:71], v[20:21]
	v_fma_f64 v[70:71], v[102:103], s[2:3], -v[106:107]
	v_mul_f64 v[116:117], v[62:63], s[36:37]
	v_add_f64 v[22:23], v[70:71], v[22:23]
	v_fma_f64 v[70:71], s[8:9], v[100:101], v[116:117]
	v_mul_f64 v[126:127], v[58:59], s[36:37]
	v_add_f64 v[52:53], v[70:71], v[52:53]
	v_fma_f64 v[70:71], v[102:103], s[8:9], -v[126:127]
	v_mul_f64 v[62:63], v[62:63], s[30:31]
	v_add_f64 v[54:55], v[70:71], v[54:55]
	v_fma_f64 v[70:71], s[14:15], v[100:101], v[62:63]
	v_add_f64 v[60:61], v[246:247], v[60:61]
	v_add_f64 v[70:71], v[70:71], v[56:57]
	v_mul_f64 v[56:57], v[102:103], s[14:15]
	v_add_f64 v[60:61], v[92:93], v[60:61]
	v_fma_f64 v[92:93], s[42:43], v[58:59], v[56:57]
	v_accvgpr_write_b32 a229, v5
	v_add_f64 v[60:61], v[92:93], v[60:61]
	v_add_f64 v[92:93], v[226:227], -v[194:195]
	v_accvgpr_write_b32 a228, v4
	v_mul_f64 v[4:5], v[92:93], s[24:25]
	v_fmac_f64_e32 v[56:57], s[30:31], v[58:59]
	v_add_f64 v[120:121], v[224:225], v[192:193]
	v_add_f64 v[58:59], v[224:225], -v[192:193]
	v_accvgpr_write_b32 a231, v5
	v_add_f64 v[0:1], v[56:57], v[0:1]
	v_accvgpr_write_b32 a230, v4
	v_fma_f64 v[56:57], s[16:17], v[120:121], v[4:5]
	v_mul_f64 v[4:5], v[58:59], s[24:25]
	v_add_f64 v[124:125], v[226:227], v[194:195]
	v_accvgpr_write_b32 a235, v5
	v_add_f64 v[8:9], v[56:57], v[8:9]
	v_accvgpr_write_b32 a234, v4
	v_fma_f64 v[56:57], v[124:125], s[16:17], -v[4:5]
	v_mul_f64 v[4:5], v[92:93], s[42:43]
	v_add_f64 v[10:11], v[56:57], v[10:11]
	v_fma_f64 v[56:57], s[14:15], v[120:121], v[4:5]
	v_fma_f64 v[62:63], v[100:101], s[14:15], -v[62:63]
	v_add_f64 v[12:13], v[56:57], v[12:13]
	v_mul_f64 v[56:57], v[58:59], s[42:43]
	v_add_f64 v[2:3], v[62:63], v[2:3]
	v_fma_f64 v[62:63], v[124:125], s[14:15], -v[56:57]
	v_mul_f64 v[112:113], v[92:93], s[28:29]
	v_add_f64 v[14:15], v[62:63], v[14:15]
	v_fma_f64 v[62:63], s[2:3], v[120:121], v[112:113]
	v_mul_f64 v[114:115], v[58:59], s[28:29]
	v_add_f64 v[16:17], v[62:63], v[16:17]
	v_fma_f64 v[62:63], v[124:125], s[2:3], -v[114:115]
	v_mul_f64 v[122:123], v[92:93], s[22:23]
	v_add_f64 v[18:19], v[62:63], v[18:19]
	v_fma_f64 v[62:63], s[12:13], v[120:121], v[122:123]
	;; [unrolled: 6-line block ×3, first 2 shown]
	v_add_f64 v[52:53], v[62:63], v[52:53]
	v_mul_f64 v[62:63], v[58:59], s[40:41]
	v_fma_f64 v[94:95], v[124:125], s[18:19], -v[62:63]
	v_add_f64 v[94:95], v[94:95], v[54:55]
	v_mul_f64 v[54:55], v[92:93], s[26:27]
	v_fma_f64 v[92:93], s[8:9], v[120:121], v[54:55]
	v_add_f64 v[70:71], v[92:93], v[70:71]
	v_mul_f64 v[92:93], v[124:125], s[8:9]
	v_fma_f64 v[96:97], s[36:37], v[58:59], v[92:93]
	v_fmac_f64_e32 v[92:93], s[26:27], v[58:59]
	v_add_f64 v[98:99], v[230:231], -v[182:183]
	v_fma_f64 v[54:55], v[120:121], s[8:9], -v[54:55]
	v_add_f64 v[0:1], v[92:93], v[0:1]
	v_add_f64 v[110:111], v[228:229], v[180:181]
	v_add_f64 v[92:93], v[228:229], -v[180:181]
	v_mul_f64 v[118:119], v[98:99], s[30:31]
	v_add_f64 v[2:3], v[54:55], v[2:3]
	v_add_f64 v[140:141], v[230:231], v[182:183]
	v_fma_f64 v[54:55], s[14:15], v[110:111], v[118:119]
	v_mul_f64 v[58:59], v[92:93], s[30:31]
	v_add_f64 v[8:9], v[54:55], v[8:9]
	v_fma_f64 v[54:55], v[140:141], s[14:15], -v[58:59]
	v_mul_f64 v[128:129], v[98:99], s[20:21]
	v_add_f64 v[10:11], v[54:55], v[10:11]
	v_fma_f64 v[54:55], s[12:13], v[110:111], v[128:129]
	v_mov_b64_e32 v[186:187], v[166:167]
	v_mul_f64 v[132:133], v[92:93], s[20:21]
	v_mov_b64_e32 v[184:185], v[164:165]
	v_add_f64 v[164:165], v[54:55], v[12:13]
	v_fma_f64 v[12:13], v[140:141], s[12:13], -v[132:133]
	v_mov_b64_e32 v[190:191], v[170:171]
	v_mul_f64 v[134:135], v[98:99], s[36:37]
	v_mov_b64_e32 v[188:189], v[168:169]
	v_add_f64 v[170:171], v[12:13], v[14:15]
	v_fma_f64 v[12:13], s[8:9], v[110:111], v[134:135]
	v_mul_f64 v[136:137], v[92:93], s[36:37]
	v_add_f64 v[96:97], v[96:97], v[60:61]
	v_add_f64 v[172:173], v[12:13], v[16:17]
	v_fma_f64 v[12:13], v[140:141], s[8:9], -v[136:137]
	v_mul_f64 v[60:61], v[98:99], s[40:41]
	v_mul_f64 v[54:55], v[92:93], s[40:41]
	v_accvgpr_write_b32 a237, v5
	v_add_f64 v[174:175], v[12:13], v[18:19]
	v_fma_f64 v[12:13], s[18:19], v[110:111], v[60:61]
	v_fma_f64 v[6:7], v[140:141], s[18:19], -v[54:55]
	v_accvgpr_write_b32 a236, v4
	v_add_f64 v[4:5], v[12:13], v[20:21]
	v_add_f64 v[6:7], v[6:7], v[22:23]
	v_mul_f64 v[20:21], v[98:99], s[24:25]
	v_mul_f64 v[22:23], v[140:141], s[16:17]
	v_add_f64 v[104:105], v[234:235], -v[238:239]
	v_mul_f64 v[166:167], v[98:99], s[28:29]
	v_fma_f64 v[16:17], s[16:17], v[110:111], v[20:21]
	v_fma_f64 v[18:19], s[38:39], v[92:93], v[22:23]
	v_fmac_f64_e32 v[22:23], s[24:25], v[92:93]
	v_add_f64 v[160:161], v[232:233], v[236:237]
	v_add_f64 v[98:99], v[232:233], -v[236:237]
	v_mul_f64 v[142:143], v[104:105], s[34:35]
	v_fma_f64 v[12:13], s[2:3], v[110:111], v[166:167]
	v_add_f64 v[16:17], v[16:17], v[70:71]
	v_add_f64 v[22:23], v[22:23], v[0:1]
	;; [unrolled: 1-line block ×3, first 2 shown]
	v_fma_f64 v[0:1], s[18:19], v[160:161], v[142:143]
	v_mul_f64 v[70:71], v[98:99], s[34:35]
	v_add_f64 v[12:13], v[12:13], v[52:53]
	v_add_f64 v[248:249], v[0:1], v[8:9]
	v_fma_f64 v[0:1], v[162:163], s[18:19], -v[70:71]
	v_mul_f64 v[52:53], v[104:105], s[28:29]
	v_mul_f64 v[168:169], v[92:93], s[28:29]
	v_add_f64 v[250:251], v[0:1], v[10:11]
	v_fma_f64 v[0:1], s[2:3], v[160:161], v[52:53]
	v_mul_f64 v[92:93], v[98:99], s[28:29]
	v_fma_f64 v[14:15], v[140:141], s[2:3], -v[168:169]
	v_add_f64 v[252:253], v[0:1], v[164:165]
	v_fma_f64 v[0:1], v[162:163], s[2:3], -v[92:93]
	v_add_f64 v[14:15], v[14:15], v[94:95]
	v_add_f64 v[254:255], v[0:1], v[170:171]
	v_mul_f64 v[94:95], v[104:105], s[30:31]
	v_mul_f64 v[170:171], v[104:105], s[26:27]
	v_add_f64 v[18:19], v[18:19], v[96:97]
	v_fma_f64 v[20:21], v[110:111], s[16:17], -v[20:21]
	v_fma_f64 v[0:1], s[14:15], v[160:161], v[94:95]
	v_mul_f64 v[164:165], v[98:99], s[30:31]
	v_fma_f64 v[8:9], s[8:9], v[160:161], v[170:171]
	v_mul_f64 v[96:97], v[98:99], s[26:27]
	v_add_f64 v[20:21], v[20:21], v[2:3]
	v_add_f64 v[0:1], v[0:1], v[172:173]
	v_fma_f64 v[2:3], v[162:163], s[14:15], -v[164:165]
	v_add_f64 v[8:9], v[8:9], v[4:5]
	v_fma_f64 v[4:5], v[162:163], s[8:9], -v[96:97]
	v_mul_f64 v[172:173], v[104:105], s[24:25]
	v_add_f64 v[2:3], v[2:3], v[174:175]
	v_add_f64 v[10:11], v[4:5], v[6:7]
	v_fma_f64 v[4:5], s[16:17], v[160:161], v[172:173]
	v_mul_f64 v[174:175], v[98:99], s[24:25]
	v_add_f64 v[12:13], v[4:5], v[12:13]
	v_fma_f64 v[4:5], v[162:163], s[16:17], -v[174:175]
	v_add_f64 v[14:15], v[4:5], v[14:15]
	v_mul_f64 v[4:5], v[104:105], s[20:21]
	v_fma_f64 v[6:7], s[12:13], v[160:161], v[4:5]
	v_add_f64 v[16:17], v[6:7], v[16:17]
	v_mul_f64 v[6:7], v[162:163], s[12:13]
	v_fma_f64 v[104:105], s[22:23], v[98:99], v[6:7]
	v_fma_f64 v[4:5], v[160:161], s[12:13], -v[4:5]
	v_fmac_f64_e32 v[6:7], s[20:21], v[98:99]
	v_add_f64 v[18:19], v[104:105], v[18:19]
	v_add_f64 v[20:21], v[4:5], v[20:21]
	;; [unrolled: 1-line block ×3, first 2 shown]
	s_barrier
	ds_write_b128 v179, a[174:177]
	ds_write_b128 v179, v[32:35] offset:16
	ds_write_b128 v179, v[40:43] offset:32
	;; [unrolled: 1-line block ×12, first 2 shown]
	s_and_saveexec_b64 s[20:21], vcc
	s_cbranch_execz .LBB0_17
; %bb.16:
	v_mul_f64 v[44:45], v[124:125], s[18:19]
	v_add_f64 v[44:45], v[62:63], v[44:45]
	v_accvgpr_read_b32 v62, a214
	v_mul_f64 v[6:7], v[66:67], s[14:15]
	v_accvgpr_read_b32 v50, a232
	v_accvgpr_read_b32 v63, a215
	v_mul_f64 v[48:49], v[68:69], s[12:13]
	v_accvgpr_read_b32 v51, a233
	v_add_f64 v[6:7], v[62:63], v[6:7]
	v_mul_f64 v[46:47], v[102:103], s[8:9]
	v_add_f64 v[48:49], v[50:51], v[48:49]
	v_add_f64 v[6:7], v[246:247], v[6:7]
	v_accvgpr_read_b32 v76, a226
	v_mul_f64 v[84:85], v[162:163], s[8:9]
	v_accvgpr_read_b32 v98, a200
	v_mul_f64 v[30:31], v[66:67], s[16:17]
	v_add_f64 v[46:47], v[126:127], v[46:47]
	v_add_f64 v[6:7], v[48:49], v[6:7]
	v_mul_f64 v[74:75], v[108:109], s[12:13]
	v_accvgpr_read_b32 v77, a227
	v_add_f64 v[84:85], v[96:97], v[84:85]
	v_accvgpr_read_b32 v96, a218
	v_accvgpr_read_b32 v99, a201
	v_mul_f64 v[62:63], v[68:69], s[8:9]
	v_add_f64 v[6:7], v[46:47], v[6:7]
	v_mul_f64 v[46:47], v[68:69], s[16:17]
	v_add_f64 v[74:75], v[74:75], -v[76:77]
	v_mul_f64 v[76:77], v[68:69], s[18:19]
	v_mul_f64 v[68:69], v[68:69], s[14:15]
	v_accvgpr_read_b32 v97, a219
	v_add_f64 v[30:31], v[98:99], v[30:31]
	v_accvgpr_read_b32 v80, a206
	v_mul_f64 v[82:83], v[102:103], s[2:3]
	v_mul_f64 v[86:87], v[140:141], s[18:19]
	v_add_f64 v[68:69], v[96:97], v[68:69]
	v_add_f64 v[30:31], v[246:247], v[30:31]
	v_mul_f64 v[4:5], v[64:65], s[14:15]
	v_accvgpr_read_b32 v81, a207
	v_add_f64 v[54:55], v[54:55], v[86:87]
	v_mul_f64 v[86:87], v[124:125], s[12:13]
	v_add_f64 v[82:83], v[106:107], v[82:83]
	v_add_f64 v[30:31], v[68:69], v[30:31]
	v_add_f64 v[4:5], v[4:5], -v[80:81]
	v_add_f64 v[86:87], v[130:131], v[86:87]
	v_add_f64 v[30:31], v[82:83], v[30:31]
	v_mul_f64 v[42:43], v[140:141], s[2:3]
	v_mul_f64 v[72:73], v[100:101], s[8:9]
	v_add_f64 v[4:5], v[244:245], v[4:5]
	v_add_f64 v[30:31], v[86:87], v[30:31]
	v_mul_f64 v[26:27], v[66:67], s[2:3]
	v_mul_f64 v[38:39], v[66:67], s[8:9]
	;; [unrolled: 1-line block ×4, first 2 shown]
	v_add_f64 v[42:43], v[168:169], v[42:43]
	v_add_f64 v[6:7], v[44:45], v[6:7]
	v_mul_f64 v[66:67], v[120:121], s[18:19]
	v_add_f64 v[72:73], v[72:73], -v[116:117]
	v_add_f64 v[4:5], v[74:75], v[4:5]
	v_add_f64 v[30:31], v[54:55], v[30:31]
	;; [unrolled: 1-line block ×4, first 2 shown]
	v_add_f64 v[66:67], v[66:67], -v[138:139]
	v_add_f64 v[4:5], v[72:73], v[4:5]
	v_add_f64 v[30:31], v[84:85], v[30:31]
	v_accvgpr_read_b32 v84, a224
	v_mul_f64 v[74:75], v[102:103], s[12:13]
	v_add_f64 v[4:5], v[66:67], v[4:5]
	v_mul_f64 v[66:67], v[102:103], s[18:19]
	v_add_f64 v[6:7], v[40:41], v[6:7]
	v_mul_f64 v[40:41], v[102:103], s[16:17]
	v_mul_f64 v[102:103], v[120:121], s[12:13]
	v_accvgpr_read_b32 v85, a225
	v_mul_f64 v[24:25], v[64:65], s[2:3]
	v_mul_f64 v[36:37], v[64:65], s[8:9]
	;; [unrolled: 1-line block ×5, first 2 shown]
	v_add_f64 v[102:103], v[102:103], -v[122:123]
	v_accvgpr_read_b32 v122, a192
	v_add_f64 v[40:41], v[84:85], v[40:41]
	v_accvgpr_read_b32 v84, a204
	v_mul_f64 v[42:43], v[160:161], s[16:17]
	v_add_f64 v[64:65], v[64:65], -v[166:167]
	v_mul_f64 v[88:89], v[120:121], s[16:17]
	v_mul_f64 v[96:97], v[120:121], s[14:15]
	;; [unrolled: 1-line block ×3, first 2 shown]
	v_accvgpr_read_b32 v120, a210
	v_accvgpr_read_b32 v123, a193
	;; [unrolled: 1-line block ×3, first 2 shown]
	v_add_f64 v[42:43], v[42:43], -v[172:173]
	v_mul_f64 v[78:79], v[108:109], s[14:15]
	v_add_f64 v[4:5], v[64:65], v[4:5]
	v_accvgpr_read_b32 v116, a228
	v_accvgpr_read_b32 v121, a211
	v_add_f64 v[28:29], v[28:29], -v[122:123]
	v_add_f64 v[76:77], v[84:85], v[76:77]
	v_accvgpr_read_b32 v84, a188
	v_add_f64 v[4:5], v[42:43], v[4:5]
	v_mul_f64 v[42:43], v[100:101], s[2:3]
	v_accvgpr_read_b32 v117, a229
	v_add_f64 v[78:79], v[78:79], -v[120:121]
	v_add_f64 v[28:29], v[244:245], v[28:29]
	v_accvgpr_read_b32 v85, a189
	v_add_f64 v[42:43], v[42:43], -v[116:117]
	v_add_f64 v[28:29], v[78:79], v[28:29]
	v_add_f64 v[34:35], v[84:85], v[34:35]
	v_mul_f64 v[104:105], v[110:111], s[18:19]
	v_add_f64 v[28:29], v[42:43], v[28:29]
	v_add_f64 v[34:35], v[246:247], v[34:35]
	v_mul_f64 v[80:81], v[100:101], s[12:13]
	v_mul_f64 v[72:73], v[100:101], s[18:19]
	;; [unrolled: 1-line block ×4, first 2 shown]
	v_add_f64 v[60:61], v[104:105], -v[60:61]
	v_add_f64 v[28:29], v[102:103], v[28:29]
	v_add_f64 v[34:35], v[76:77], v[34:35]
	;; [unrolled: 1-line block ×6, first 2 shown]
	v_accvgpr_read_b32 v60, a222
	v_accvgpr_read_b32 v61, a223
	v_add_f64 v[60:61], v[64:65], -v[60:61]
	v_accvgpr_read_b32 v64, a202
	v_mul_f64 v[44:45], v[108:109], s[18:19]
	v_accvgpr_read_b32 v65, a203
	v_add_f64 v[44:45], v[44:45], -v[64:65]
	v_accvgpr_read_b32 v64, a186
	v_accvgpr_read_b32 v65, a187
	v_add_f64 v[32:33], v[32:33], -v[64:65]
	v_mul_f64 v[98:99], v[124:125], s[14:15]
	v_add_f64 v[32:33], v[244:245], v[32:33]
	v_mul_f64 v[54:55], v[160:161], s[8:9]
	v_add_f64 v[32:33], v[44:45], v[32:33]
	v_add_f64 v[44:45], v[56:57], v[98:99]
	v_accvgpr_read_b32 v56, a198
	v_mul_f64 v[50:51], v[108:109], s[8:9]
	v_mul_f64 v[48:49], v[108:109], s[16:17]
	;; [unrolled: 1-line block ×3, first 2 shown]
	v_add_f64 v[54:55], v[54:55], -v[170:171]
	v_mul_f64 v[104:105], v[110:111], s[12:13]
	v_mul_f64 v[108:109], v[110:111], s[8:9]
	;; [unrolled: 1-line block ×3, first 2 shown]
	v_accvgpr_read_b32 v57, a199
	v_add_f64 v[28:29], v[54:55], v[28:29]
	v_add_f64 v[54:55], v[136:137], v[110:111]
	v_add_f64 v[46:47], v[56:57], v[46:47]
	v_accvgpr_read_b32 v56, a184
	v_add_f64 v[34:35], v[54:55], v[34:35]
	v_add_f64 v[54:55], v[68:69], -v[112:113]
	v_add_f64 v[32:33], v[60:61], v[32:33]
	v_accvgpr_read_b32 v57, a185
	v_add_f64 v[32:33], v[54:55], v[32:33]
	v_accvgpr_read_b32 v54, a220
	v_add_f64 v[38:39], v[56:57], v[38:39]
	v_mul_f64 v[126:127], v[162:163], s[14:15]
	v_accvgpr_read_b32 v55, a221
	v_add_f64 v[38:39], v[246:247], v[38:39]
	v_add_f64 v[42:43], v[164:165], v[126:127]
	;; [unrolled: 1-line block ×4, first 2 shown]
	v_mul_f64 v[90:91], v[124:125], s[16:17]
	v_mul_f64 v[106:107], v[140:141], s[12:13]
	;; [unrolled: 1-line block ×3, first 2 shown]
	v_add_f64 v[34:35], v[42:43], v[34:35]
	v_add_f64 v[42:43], v[108:109], -v[134:135]
	v_add_f64 v[38:39], v[54:55], v[38:39]
	v_mul_f64 v[78:79], v[162:163], s[2:3]
	v_add_f64 v[40:41], v[124:125], -v[94:95]
	v_add_f64 v[32:33], v[42:43], v[32:33]
	v_add_f64 v[42:43], v[132:133], v[106:107]
	;; [unrolled: 1-line block ×3, first 2 shown]
	v_mul_f64 v[122:123], v[160:161], s[2:3]
	v_add_f64 v[32:33], v[40:41], v[32:33]
	v_add_f64 v[40:41], v[92:93], v[78:79]
	;; [unrolled: 1-line block ×4, first 2 shown]
	v_add_f64 v[40:41], v[122:123], -v[52:53]
	v_accvgpr_read_b32 v52, a196
	v_accvgpr_read_b32 v53, a197
	v_add_f64 v[48:49], v[48:49], -v[52:53]
	v_accvgpr_read_b32 v52, a182
	v_accvgpr_read_b32 v53, a183
	v_add_f64 v[36:37], v[36:37], -v[52:53]
	v_add_f64 v[36:37], v[244:245], v[36:37]
	v_accvgpr_read_b32 v52, a180
	v_add_f64 v[36:37], v[48:49], v[36:37]
	v_accvgpr_read_b32 v48, a194
	v_accvgpr_read_b32 v53, a181
	;; [unrolled: 1-line block ×4, first 2 shown]
	v_add_f64 v[26:27], v[52:53], v[26:27]
	v_accvgpr_read_b32 v44, a236
	v_accvgpr_read_b32 v47, a217
	v_add_f64 v[48:49], v[48:49], v[62:63]
	v_add_f64 v[26:27], v[246:247], v[26:27]
	v_accvgpr_read_b32 v45, a237
	v_add_f64 v[46:47], v[72:73], -v[46:47]
	v_add_f64 v[26:27], v[48:49], v[26:27]
	v_accvgpr_read_b32 v48, a190
	v_add_f64 v[44:45], v[96:97], -v[44:45]
	v_add_f64 v[36:37], v[46:47], v[36:37]
	v_accvgpr_read_b32 v46, a212
	v_accvgpr_read_b32 v49, a191
	v_add_f64 v[36:37], v[44:45], v[36:37]
	v_accvgpr_read_b32 v44, a234
	v_accvgpr_read_b32 v47, a213
	v_add_f64 v[48:49], v[50:51], -v[48:49]
	v_accvgpr_read_b32 v50, a178
	v_accvgpr_read_b32 v45, a235
	v_add_f64 v[46:47], v[46:47], v[74:75]
	v_accvgpr_read_b32 v51, a179
	v_add_f64 v[44:45], v[44:45], v[90:91]
	v_add_f64 v[26:27], v[46:47], v[26:27]
	v_accvgpr_read_b32 v46, a208
	v_add_f64 v[24:25], v[24:25], -v[50:51]
	v_add_f64 v[26:27], v[44:45], v[26:27]
	v_accvgpr_read_b32 v44, a230
	v_accvgpr_read_b32 v47, a209
	v_add_f64 v[24:25], v[244:245], v[24:25]
	v_mul_f64 v[86:87], v[140:141], s[14:15]
	v_add_f64 v[42:43], v[104:105], -v[128:129]
	v_accvgpr_read_b32 v45, a231
	v_add_f64 v[46:47], v[80:81], -v[46:47]
	v_add_f64 v[24:25], v[48:49], v[24:25]
	v_mul_f64 v[120:121], v[162:163], s[18:19]
	v_add_f64 v[36:37], v[42:43], v[36:37]
	v_add_f64 v[42:43], v[58:59], v[86:87]
	v_add_f64 v[44:45], v[88:89], -v[44:45]
	v_add_f64 v[24:25], v[46:47], v[24:25]
	v_mul_f64 v[116:117], v[160:161], s[18:19]
	v_add_f64 v[36:37], v[40:41], v[36:37]
	v_add_f64 v[40:41], v[70:71], v[120:121]
	;; [unrolled: 1-line block ×3, first 2 shown]
	v_add_f64 v[42:43], v[82:83], -v[118:119]
	v_add_f64 v[24:25], v[44:45], v[24:25]
	v_add_f64 v[26:27], v[40:41], v[26:27]
	v_add_f64 v[40:41], v[116:117], -v[142:143]
	v_add_f64 v[24:25], v[42:43], v[24:25]
	v_add_f64 v[24:25], v[40:41], v[24:25]
	;; [unrolled: 1-line block ×25, first 2 shown]
	v_accvgpr_read_b32 v44, a3
	v_accvgpr_read_b32 v45, a5
	v_add_f64 v[40:41], v[40:41], v[196:197]
	v_lshl_add_u32 v44, v45, 4, v44
	ds_write_b128 v44, v[40:43]
	ds_write_b128 v44, v[248:251] offset:16
	ds_write_b128 v44, v[252:255] offset:32
	ds_write_b128 v44, v[0:3] offset:48
	ds_write_b128 v44, v[8:11] offset:64
	ds_write_b128 v44, v[12:15] offset:80
	ds_write_b128 v44, v[16:19] offset:96
	ds_write_b128 v44, v[20:23] offset:112
	ds_write_b128 v44, v[4:7] offset:128
	ds_write_b128 v44, v[28:31] offset:144
	ds_write_b128 v44, v[32:35] offset:160
	ds_write_b128 v44, v[36:39] offset:176
	ds_write_b128 v44, v[24:27] offset:192
.LBB0_17:
	s_or_b64 exec, exec, s[20:21]
	s_waitcnt lgkmcnt(0)
	s_barrier
	ds_read_b128 v[24:27], v176
	ds_read_b128 v[4:7], v176 offset:1456
	ds_read_b128 v[72:75], v176 offset:3120
	;; [unrolled: 1-line block ×13, first 2 shown]
	s_and_saveexec_b64 s[2:3], s[0:1]
	s_cbranch_execz .LBB0_19
; %bb.18:
	ds_read_b128 v[248:251], v176 offset:2912
	ds_read_b128 v[252:255], v176 offset:6032
	;; [unrolled: 1-line block ×7, first 2 shown]
.LBB0_19:
	s_or_b64 exec, exec, s[2:3]
	v_accvgpr_read_b32 v82, a90
	v_accvgpr_read_b32 v84, a92
	v_accvgpr_read_b32 v85, a93
	v_accvgpr_read_b32 v83, a91
	s_waitcnt lgkmcnt(11)
	v_mul_f64 v[80:81], v[84:85], v[74:75]
	v_fmac_f64_e32 v[80:81], v[82:83], v[72:73]
	v_mul_f64 v[72:73], v[84:85], v[72:73]
	v_fma_f64 v[72:73], v[82:83], v[74:75], -v[72:73]
	v_accvgpr_read_b32 v82, a86
	v_accvgpr_read_b32 v84, a88
	v_accvgpr_read_b32 v85, a89
	v_accvgpr_read_b32 v83, a87
	s_waitcnt lgkmcnt(9)
	v_mul_f64 v[74:75], v[84:85], v[70:71]
	v_fmac_f64_e32 v[74:75], v[82:83], v[68:69]
	v_mul_f64 v[68:69], v[84:85], v[68:69]
	v_fma_f64 v[68:69], v[82:83], v[70:71], -v[68:69]
	;; [unrolled: 9-line block ×6, first 2 shown]
	v_accvgpr_read_b32 v82, a122
	v_accvgpr_read_b32 v84, a124
	v_accvgpr_read_b32 v85, a125
	v_accvgpr_read_b32 v83, a123
	v_mul_f64 v[54:55], v[84:85], v[50:51]
	v_fmac_f64_e32 v[54:55], v[82:83], v[48:49]
	v_mul_f64 v[48:49], v[84:85], v[48:49]
	v_fma_f64 v[82:83], v[82:83], v[50:51], -v[48:49]
	v_accvgpr_read_b32 v48, a114
	v_accvgpr_read_b32 v50, a116
	v_accvgpr_read_b32 v51, a117
	v_accvgpr_read_b32 v49, a115
	v_mul_f64 v[84:85], v[50:51], v[46:47]
	v_fmac_f64_e32 v[84:85], v[48:49], v[44:45]
	v_mul_f64 v[44:45], v[50:51], v[44:45]
	v_fma_f64 v[86:87], v[48:49], v[46:47], -v[44:45]
	;; [unrolled: 8-line block ×5, first 2 shown]
	v_accvgpr_read_b32 v32, a118
	v_accvgpr_read_b32 v34, a120
	;; [unrolled: 1-line block ×4, first 2 shown]
	s_waitcnt lgkmcnt(0)
	v_mul_f64 v[100:101], v[34:35], v[30:31]
	v_fmac_f64_e32 v[100:101], v[32:33], v[28:29]
	v_mul_f64 v[28:29], v[34:35], v[28:29]
	v_fma_f64 v[102:103], v[32:33], v[30:31], -v[28:29]
	v_add_f64 v[28:29], v[80:81], v[58:59]
	v_add_f64 v[36:37], v[74:75], v[62:63]
	;; [unrolled: 1-line block ×3, first 2 shown]
	v_add_f64 v[34:35], v[72:73], -v[52:53]
	v_add_f64 v[38:39], v[68:69], v[56:57]
	v_add_f64 v[44:45], v[70:71], v[66:67]
	;; [unrolled: 1-line block ×3, first 2 shown]
	v_add_f64 v[32:33], v[80:81], -v[58:59]
	v_add_f64 v[42:43], v[68:69], -v[56:57]
	v_add_f64 v[46:47], v[64:65], v[60:61]
	v_add_f64 v[56:57], v[38:39], v[30:31]
	v_add_f64 v[58:59], v[36:37], -v[28:29]
	v_add_f64 v[28:29], v[28:29], -v[44:45]
	;; [unrolled: 1-line block ×3, first 2 shown]
	v_add_f64 v[44:45], v[44:45], v[52:53]
	v_add_f64 v[40:41], v[74:75], -v[62:63]
	v_add_f64 v[48:49], v[66:67], -v[70:71]
	v_add_f64 v[50:51], v[60:61], -v[64:65]
	v_add_f64 v[60:61], v[38:39], -v[30:31]
	v_add_f64 v[30:31], v[30:31], -v[46:47]
	v_add_f64 v[38:39], v[46:47], -v[38:39]
	v_add_f64 v[46:47], v[46:47], v[56:57]
	v_add_f64 v[24:25], v[24:25], v[44:45]
	s_mov_b32 s12, 0x37e14327
	s_mov_b32 s14, 0x36b3c0b5
	;; [unrolled: 1-line block ×5, first 2 shown]
	v_add_f64 v[62:63], v[48:49], v[40:41]
	v_add_f64 v[64:65], v[50:51], v[42:43]
	v_add_f64 v[66:67], v[48:49], -v[40:41]
	v_add_f64 v[68:69], v[50:51], -v[42:43]
	;; [unrolled: 1-line block ×4, first 2 shown]
	v_add_f64 v[26:27], v[26:27], v[46:47]
	s_mov_b32 s13, 0x3fe948f6
	s_mov_b32 s15, 0x3fac98ee
	;; [unrolled: 1-line block ×5, first 2 shown]
	v_mov_b64_e32 v[70:71], v[24:25]
	s_mov_b32 s8, 0x5476071b
	s_mov_b32 s26, 0xb247c609
	v_add_f64 v[48:49], v[32:33], -v[48:49]
	v_add_f64 v[50:51], v[34:35], -v[50:51]
	v_add_f64 v[32:33], v[62:63], v[32:33]
	v_add_f64 v[34:35], v[64:65], v[34:35]
	v_mul_f64 v[28:29], v[28:29], s[12:13]
	v_mul_f64 v[30:31], v[30:31], s[12:13]
	;; [unrolled: 1-line block ×8, first 2 shown]
	v_fmac_f64_e32 v[70:71], s[24:25], v[44:45]
	v_mov_b64_e32 v[44:45], v[26:27]
	s_mov_b32 s9, 0x3fe77f67
	s_mov_b32 s19, 0xbfe77f67
	;; [unrolled: 1-line block ×7, first 2 shown]
	v_fmac_f64_e32 v[44:45], s[24:25], v[46:47]
	v_fma_f64 v[46:47], v[58:59], s[8:9], -v[52:53]
	v_fma_f64 v[52:53], v[60:61], s[8:9], -v[56:57]
	;; [unrolled: 1-line block ×3, first 2 shown]
	v_fmac_f64_e32 v[28:29], s[14:15], v[36:37]
	v_fma_f64 v[36:37], v[60:61], s[18:19], -v[30:31]
	v_fma_f64 v[58:59], v[40:41], s[2:3], -v[62:63]
	v_fmac_f64_e32 v[62:63], s[26:27], v[48:49]
	v_fma_f64 v[40:41], v[42:43], s[2:3], -v[64:65]
	v_fmac_f64_e32 v[64:65], s[26:27], v[50:51]
	v_fma_f64 v[48:49], v[48:49], s[22:23], -v[66:67]
	v_fma_f64 v[50:51], v[50:51], s[22:23], -v[68:69]
	s_mov_b32 s21, 0xbfdc38aa
	v_fmac_f64_e32 v[30:31], s[14:15], v[38:39]
	v_add_f64 v[60:61], v[28:29], v[70:71]
	v_add_f64 v[42:43], v[46:47], v[70:71]
	;; [unrolled: 1-line block ×5, first 2 shown]
	v_fmac_f64_e32 v[64:65], s[20:21], v[34:35]
	v_fmac_f64_e32 v[58:59], s[20:21], v[32:33]
	;; [unrolled: 1-line block ×5, first 2 shown]
	v_add_f64 v[66:67], v[30:31], v[44:45]
	v_fmac_f64_e32 v[62:63], s[20:21], v[32:33]
	v_add_f64 v[28:29], v[64:65], v[60:61]
	v_add_f64 v[32:33], v[50:51], v[52:53]
	v_add_f64 v[34:35], v[56:57], -v[48:49]
	v_add_f64 v[36:37], v[42:43], -v[40:41]
	v_add_f64 v[38:39], v[58:59], v[46:47]
	v_add_f64 v[40:41], v[40:41], v[42:43]
	v_add_f64 v[42:43], v[46:47], -v[58:59]
	v_add_f64 v[44:45], v[52:53], -v[50:51]
	v_add_f64 v[46:47], v[48:49], v[56:57]
	v_add_f64 v[48:49], v[60:61], -v[64:65]
	v_add_f64 v[52:53], v[54:55], v[100:101]
	v_add_f64 v[60:61], v[84:85], v[96:97]
	v_add_f64 v[30:31], v[66:67], -v[62:63]
	v_add_f64 v[50:51], v[62:63], v[66:67]
	v_add_f64 v[56:57], v[82:83], v[102:103]
	;; [unrolled: 1-line block ×5, first 2 shown]
	v_add_f64 v[58:59], v[82:83], -v[102:103]
	v_add_f64 v[64:65], v[84:85], -v[96:97]
	v_add_f64 v[70:71], v[90:91], v[94:95]
	v_add_f64 v[82:83], v[62:63], v[56:57]
	v_add_f64 v[84:85], v[60:61], -v[52:53]
	v_add_f64 v[52:53], v[52:53], -v[68:69]
	;; [unrolled: 1-line block ×3, first 2 shown]
	v_add_f64 v[68:69], v[68:69], v[80:81]
	v_add_f64 v[54:55], v[54:55], -v[100:101]
	v_add_f64 v[66:67], v[86:87], -v[98:99]
	;; [unrolled: 1-line block ×7, first 2 shown]
	v_add_f64 v[70:71], v[70:71], v[82:83]
	v_add_f64 v[4:5], v[4:5], v[68:69]
	;; [unrolled: 1-line block ×4, first 2 shown]
	v_add_f64 v[92:93], v[72:73], -v[64:65]
	v_add_f64 v[94:95], v[74:75], -v[66:67]
	;; [unrolled: 1-line block ×4, first 2 shown]
	v_add_f64 v[6:7], v[6:7], v[70:71]
	v_mov_b64_e32 v[96:97], v[4:5]
	v_add_f64 v[72:73], v[54:55], -v[72:73]
	v_add_f64 v[74:75], v[58:59], -v[74:75]
	v_add_f64 v[54:55], v[88:89], v[54:55]
	v_add_f64 v[58:59], v[90:91], v[58:59]
	v_mul_f64 v[52:53], v[52:53], s[12:13]
	v_mul_f64 v[56:57], v[56:57], s[12:13]
	;; [unrolled: 1-line block ×8, first 2 shown]
	v_fmac_f64_e32 v[96:97], s[24:25], v[68:69]
	v_mov_b64_e32 v[68:69], v[6:7]
	v_fmac_f64_e32 v[68:69], s[24:25], v[70:71]
	v_fma_f64 v[70:71], v[84:85], s[8:9], -v[80:81]
	v_fma_f64 v[80:81], v[86:87], s[8:9], -v[82:83]
	v_fma_f64 v[82:83], v[84:85], s[18:19], -v[52:53]
	v_fmac_f64_e32 v[52:53], s[14:15], v[60:61]
	v_fma_f64 v[60:61], v[86:87], s[18:19], -v[56:57]
	v_fmac_f64_e32 v[56:57], s[14:15], v[62:63]
	v_fma_f64 v[84:85], v[64:65], s[2:3], -v[88:89]
	;; [unrolled: 2-line block ×4, first 2 shown]
	v_fma_f64 v[74:75], v[74:75], s[22:23], -v[94:95]
	v_add_u32_e32 v78, 0xb60, v176
	v_add_u32_e32 v77, 0x1110, v176
	;; [unrolled: 1-line block ×3, first 2 shown]
	v_add_f64 v[86:87], v[52:53], v[96:97]
	v_add_f64 v[92:93], v[56:57], v[68:69]
	;; [unrolled: 1-line block ×6, first 2 shown]
	v_fmac_f64_e32 v[88:89], s[20:21], v[54:55]
	v_fmac_f64_e32 v[90:91], s[20:21], v[58:59]
	;; [unrolled: 1-line block ×6, first 2 shown]
	v_accvgpr_read_b32 v79, a131
	v_add_f64 v[52:53], v[90:91], v[86:87]
	v_add_f64 v[54:55], v[92:93], -v[88:89]
	v_add_f64 v[56:57], v[74:75], v[80:81]
	v_add_f64 v[58:59], v[82:83], -v[72:73]
	v_add_f64 v[60:61], v[66:67], -v[64:65]
	v_add_f64 v[62:63], v[84:85], v[70:71]
	v_add_f64 v[64:65], v[64:65], v[66:67]
	v_add_f64 v[66:67], v[70:71], -v[84:85]
	v_add_f64 v[68:69], v[80:81], -v[74:75]
	v_add_f64 v[70:71], v[72:73], v[82:83]
	v_add_f64 v[72:73], v[86:87], -v[90:91]
	v_add_f64 v[74:75], v[88:89], v[92:93]
	s_barrier
	ds_write_b128 v79, v[24:27]
	ds_write_b128 v79, v[28:31] offset:208
	ds_write_b128 v79, v[32:35] offset:416
	;; [unrolled: 1-line block ×6, first 2 shown]
	ds_write_b128 v178, v[4:7]
	ds_write_b128 v178, v[52:55] offset:208
	ds_write_b128 v178, v[56:59] offset:416
	;; [unrolled: 1-line block ×6, first 2 shown]
	s_and_saveexec_b64 s[28:29], s[0:1]
	s_cbranch_execz .LBB0_21
; %bb.20:
	v_accvgpr_read_b32 v46, a70
	v_accvgpr_read_b32 v62, a74
	;; [unrolled: 1-line block ×19, first 2 shown]
	v_mul_f64 v[4:5], v[48:49], v[254:255]
	v_accvgpr_read_b32 v63, a75
	v_mul_f64 v[24:25], v[64:65], v[22:23]
	v_accvgpr_read_b32 v51, a59
	;; [unrolled: 2-line block ×5, first 2 shown]
	v_mul_f64 v[36:37], v[68:69], v[18:19]
	v_fmac_f64_e32 v[4:5], v[46:47], v[252:253]
	v_fmac_f64_e32 v[24:25], v[62:63], v[20:21]
	;; [unrolled: 1-line block ×6, first 2 shown]
	v_add_f64 v[26:27], v[4:5], -v[24:25]
	v_add_f64 v[6:7], v[28:29], -v[30:31]
	;; [unrolled: 1-line block ×5, first 2 shown]
	v_add_f64 v[6:7], v[6:7], v[38:39]
	v_add_f64 v[44:45], v[6:7], v[26:27]
	v_mul_f64 v[6:7], v[64:65], v[20:21]
	v_fma_f64 v[20:21], v[62:63], v[22:23], -v[6:7]
	v_mul_f64 v[6:7], v[48:49], v[252:253]
	v_fma_f64 v[22:23], v[46:47], v[254:255], -v[6:7]
	v_mul_f64 v[6:7], v[68:69], v[16:17]
	v_mul_f64 v[0:1], v[60:61], v[0:1]
	v_fma_f64 v[16:17], v[66:67], v[18:19], -v[6:7]
	v_fma_f64 v[18:19], v[58:59], v[2:3], -v[0:1]
	v_mul_f64 v[2:3], v[56:57], v[8:9]
	v_fma_f64 v[8:9], v[54:55], v[10:11], -v[2:3]
	v_mul_f64 v[2:3], v[52:53], v[12:13]
	v_add_f64 v[46:47], v[22:23], v[20:21]
	v_add_f64 v[48:49], v[18:19], v[16:17]
	v_fma_f64 v[10:11], v[50:51], v[14:15], -v[2:3]
	v_add_f64 v[0:1], v[48:49], v[46:47]
	v_add_f64 v[6:7], v[8:9], v[10:11]
	;; [unrolled: 1-line block ×4, first 2 shown]
	v_mov_b64_e32 v[12:13], v[2:3]
	v_fmac_f64_e32 v[12:13], s[24:25], v[0:1]
	v_add_f64 v[0:1], v[46:47], -v[6:7]
	v_mul_f64 v[14:15], v[0:1], s[12:13]
	v_add_f64 v[0:1], v[6:7], -v[48:49]
	v_mul_f64 v[50:51], v[0:1], s[14:15]
	v_fma_f64 v[0:1], s[14:15], v[0:1], v[14:15]
	v_add_f64 v[24:25], v[4:5], v[24:25]
	v_add_f64 v[34:35], v[34:35], v[36:37]
	;; [unrolled: 1-line block ×7, first 2 shown]
	v_mov_b64_e32 v[30:31], v[0:1]
	v_fmac_f64_e32 v[30:31], s[24:25], v[28:29]
	v_add_f64 v[28:29], v[24:25], -v[4:5]
	v_mul_f64 v[28:29], v[28:29], s[12:13]
	v_add_f64 v[4:5], v[4:5], -v[34:35]
	v_mul_f64 v[36:37], v[4:5], s[14:15]
	v_fma_f64 v[4:5], s[14:15], v[4:5], v[28:29]
	v_add_f64 v[54:55], v[4:5], v[30:31]
	v_add_f64 v[4:5], v[10:11], -v[8:9]
	v_add_f64 v[16:17], v[18:19], -v[16:17]
	;; [unrolled: 1-line block ×4, first 2 shown]
	v_mul_f64 v[40:41], v[40:41], s[16:17]
	v_add_f64 v[20:21], v[22:23], -v[20:21]
	v_mul_f64 v[18:19], v[10:11], s[16:17]
	v_mul_f64 v[10:11], v[26:27], s[2:3]
	v_add_f64 v[38:39], v[48:49], -v[46:47]
	v_add_f64 v[24:25], v[34:35], -v[24:25]
	v_fma_f64 v[42:43], s[26:27], v[32:33], v[40:41]
	v_add_f64 v[8:9], v[20:21], -v[4:5]
	v_add_f64 v[4:5], v[4:5], v[16:17]
	v_fma_f64 v[32:33], v[32:33], s[22:23], -v[10:11]
	v_fma_f64 v[10:11], v[38:39], s[18:19], -v[14:15]
	;; [unrolled: 1-line block ×3, first 2 shown]
	v_add_f64 v[16:17], v[16:17], -v[20:21]
	v_add_f64 v[28:29], v[14:15], v[30:31]
	v_mul_f64 v[14:15], v[16:17], s[2:3]
	v_add_f64 v[22:23], v[4:5], v[20:21]
	v_fma_f64 v[20:21], v[8:9], s[22:23], -v[14:15]
	v_fma_f64 v[14:15], v[38:39], s[8:9], -v[50:51]
	v_fma_f64 v[56:57], s[26:27], v[8:9], v[18:19]
	v_add_f64 v[46:47], v[10:11], v[12:13]
	v_fmac_f64_e32 v[20:21], s[20:21], v[22:23]
	v_add_f64 v[34:35], v[14:15], v[12:13]
	v_fma_f64 v[26:27], v[26:27], s[2:3], -v[40:41]
	v_fma_f64 v[12:13], v[24:25], s[8:9], -v[36:37]
	;; [unrolled: 1-line block ×3, first 2 shown]
	v_fmac_f64_e32 v[42:43], s[20:21], v[44:45]
	v_fmac_f64_e32 v[56:57], s[20:21], v[22:23]
	;; [unrolled: 1-line block ×3, first 2 shown]
	v_add_f64 v[8:9], v[28:29], -v[20:21]
	v_fmac_f64_e32 v[26:27], s[20:21], v[44:45]
	v_add_f64 v[24:25], v[12:13], v[30:31]
	v_fmac_f64_e32 v[16:17], s[20:21], v[22:23]
	v_add_f64 v[20:21], v[20:21], v[28:29]
	v_accvgpr_read_b32 v28, a130
	v_add_f64 v[6:7], v[42:43], v[52:53]
	v_add_f64 v[4:5], v[54:55], -v[56:57]
	v_add_f64 v[10:11], v[32:33], v[46:47]
	v_add_f64 v[14:15], v[34:35], -v[26:27]
	v_add_f64 v[12:13], v[16:17], v[24:25]
	v_add_f64 v[18:19], v[26:27], v[34:35]
	v_add_f64 v[16:17], v[24:25], -v[16:17]
	v_add_f64 v[22:23], v[46:47], -v[32:33]
	;; [unrolled: 1-line block ×3, first 2 shown]
	v_add_f64 v[24:25], v[56:57], v[54:55]
	ds_write_b128 v28, v[0:3] offset:20384
	ds_write_b128 v28, v[24:27] offset:20592
	;; [unrolled: 1-line block ×7, first 2 shown]
.LBB0_21:
	s_or_b64 exec, exec, s[28:29]
	s_waitcnt lgkmcnt(0)
	s_barrier
	ds_read_b128 v[0:3], v176
	ds_read_b128 v[4:7], v176 offset:1456
	ds_read_b128 v[12:15], v176 offset:8736
	;; [unrolled: 1-line block ×14, first 2 shown]
	s_waitcnt lgkmcnt(12)
	v_mul_f64 v[72:73], v[154:155], v[14:15]
	v_fmac_f64_e32 v[72:73], v[152:153], v[12:13]
	v_mul_f64 v[12:13], v[154:155], v[12:13]
	v_fma_f64 v[74:75], v[152:153], v[14:15], -v[12:13]
	s_waitcnt lgkmcnt(4)
	v_mul_f64 v[12:13], v[150:151], v[48:49]
	v_mul_f64 v[80:81], v[150:151], v[50:51]
	v_fma_f64 v[50:51], v[148:149], v[50:51], -v[12:13]
	v_mul_f64 v[12:13], v[146:147], v[20:21]
	v_fma_f64 v[84:85], v[144:145], v[22:23], -v[12:13]
	;; [unrolled: 2-line block ×3, first 2 shown]
	v_mul_f64 v[90:91], v[154:155], v[18:19]
	v_mul_f64 v[12:13], v[154:155], v[16:17]
	v_fmac_f64_e32 v[90:91], v[152:153], v[16:17]
	v_fma_f64 v[92:93], v[152:153], v[18:19], -v[12:13]
	s_waitcnt lgkmcnt(2)
	v_mul_f64 v[12:13], v[150:151], v[56:57]
	v_accvgpr_read_b32 v14, a144
	v_mul_f64 v[68:69], v[158:159], v[36:37]
	v_fma_f64 v[96:97], v[148:149], v[58:59], -v[12:13]
	v_mul_f64 v[12:13], v[146:147], v[24:25]
	v_accvgpr_read_b32 v16, a146
	v_accvgpr_read_b32 v17, a147
	v_fmac_f64_e32 v[68:69], v[156:157], v[34:35]
	v_mul_f64 v[34:35], v[158:159], v[34:35]
	v_fma_f64 v[100:101], v[144:145], v[26:27], -v[12:13]
	v_accvgpr_read_b32 v15, a145
	v_mul_f64 v[42:43], v[16:17], v[46:47]
	v_mul_f64 v[12:13], v[16:17], v[44:45]
	v_fma_f64 v[70:71], v[156:157], v[36:37], -v[34:35]
	v_fmac_f64_e32 v[42:43], v[14:15], v[44:45]
	v_fma_f64 v[34:35], v[14:15], v[46:47], -v[12:13]
	v_accvgpr_read_b32 v14, a140
	v_accvgpr_read_b32 v16, a142
	;; [unrolled: 1-line block ×4, first 2 shown]
	v_mul_f64 v[44:45], v[16:17], v[54:55]
	v_mul_f64 v[12:13], v[16:17], v[52:53]
	v_fmac_f64_e32 v[44:45], v[14:15], v[52:53]
	v_fma_f64 v[36:37], v[14:15], v[54:55], -v[12:13]
	v_accvgpr_read_b32 v14, a136
	v_accvgpr_read_b32 v16, a138
	v_accvgpr_read_b32 v17, a139
	v_mul_f64 v[86:87], v[158:159], v[40:41]
	v_accvgpr_read_b32 v15, a137
	s_waitcnt lgkmcnt(1)
	v_mul_f64 v[46:47], v[16:17], v[62:63]
	v_mul_f64 v[12:13], v[16:17], v[60:61]
	v_fmac_f64_e32 v[86:87], v[156:157], v[38:39]
	v_fmac_f64_e32 v[46:47], v[14:15], v[60:61]
	v_fma_f64 v[38:39], v[14:15], v[62:63], -v[12:13]
	v_accvgpr_read_b32 v14, a132
	v_accvgpr_read_b32 v16, a134
	;; [unrolled: 1-line block ×4, first 2 shown]
	s_waitcnt lgkmcnt(0)
	v_mul_f64 v[12:13], v[16:17], v[64:65]
	v_fma_f64 v[40:41], v[14:15], v[66:67], -v[12:13]
	v_add_f64 v[12:13], v[0:1], v[68:69]
	v_fmac_f64_e32 v[80:81], v[148:149], v[48:49]
	v_mul_f64 v[82:83], v[146:147], v[22:23]
	v_add_f64 v[12:13], v[12:13], v[72:73]
	v_accvgpr_read_b32 v102, a4
	v_fmac_f64_e32 v[82:83], v[144:145], v[20:21]
	v_add_f64 v[12:13], v[12:13], v[80:81]
	v_mad_u64_u32 v[30:31], s[0:1], s6, v102, 0
	v_mul_f64 v[48:49], v[16:17], v[66:67]
	v_add_f64 v[16:17], v[12:13], v[82:83]
	v_add_f64 v[12:13], v[72:73], v[80:81]
	s_mov_b32 s2, 0x134454ff
	v_mov_b32_e32 v28, s10
	v_mov_b32_e32 v29, s11
	v_mul_f64 v[98:99], v[146:147], v[26:27]
	v_fmac_f64_e32 v[48:49], v[14:15], v[64:65]
	v_fma_f64 v[12:13], -0.5, v[12:13], v[0:1]
	v_add_f64 v[14:15], v[70:71], -v[84:85]
	s_mov_b32 s3, 0xbfee6f0e
	s_mov_b32 s0, 0x4755a5e
	s_mov_b32 s11, 0x3fee6f0e
	s_mov_b32 s10, s2
	v_fmac_f64_e32 v[98:99], v[144:145], v[24:25]
	v_fma_f64 v[20:21], s[2:3], v[14:15], v[12:13]
	v_add_f64 v[18:19], v[74:75], -v[50:51]
	s_mov_b32 s1, 0xbfe2cf23
	v_add_f64 v[22:23], v[68:69], -v[72:73]
	v_add_f64 v[24:25], v[82:83], -v[80:81]
	s_mov_b32 s8, 0x372fe950
	v_fmac_f64_e32 v[12:13], s[10:11], v[14:15]
	s_mov_b32 s13, 0x3fe2cf23
	s_mov_b32 s12, s0
	v_fmac_f64_e32 v[20:21], s[0:1], v[18:19]
	v_add_f64 v[22:23], v[22:23], v[24:25]
	s_mov_b32 s9, 0x3fd3c6ef
	v_fmac_f64_e32 v[12:13], s[12:13], v[18:19]
	v_fmac_f64_e32 v[20:21], s[8:9], v[22:23]
	;; [unrolled: 1-line block ×3, first 2 shown]
	v_add_f64 v[22:23], v[68:69], v[82:83]
	v_fmac_f64_e32 v[0:1], -0.5, v[22:23]
	v_fma_f64 v[24:25], s[10:11], v[18:19], v[0:1]
	v_fmac_f64_e32 v[0:1], s[2:3], v[18:19]
	v_fmac_f64_e32 v[24:25], s[0:1], v[14:15]
	;; [unrolled: 1-line block ×3, first 2 shown]
	v_add_f64 v[14:15], v[2:3], v[70:71]
	v_add_f64 v[14:15], v[14:15], v[74:75]
	;; [unrolled: 1-line block ×3, first 2 shown]
	v_add_f64 v[22:23], v[72:73], -v[68:69]
	v_add_f64 v[26:27], v[80:81], -v[82:83]
	v_add_f64 v[18:19], v[14:15], v[84:85]
	v_add_f64 v[14:15], v[74:75], v[50:51]
	v_mul_f64 v[94:95], v[150:151], v[58:59]
	v_add_f64 v[22:23], v[22:23], v[26:27]
	v_fma_f64 v[14:15], -0.5, v[14:15], v[2:3]
	v_add_f64 v[52:53], v[68:69], -v[82:83]
	v_fmac_f64_e32 v[94:95], v[148:149], v[56:57]
	v_fmac_f64_e32 v[24:25], s[8:9], v[22:23]
	;; [unrolled: 1-line block ×3, first 2 shown]
	v_fma_f64 v[22:23], s[10:11], v[52:53], v[14:15]
	v_add_f64 v[54:55], v[72:73], -v[80:81]
	v_add_f64 v[26:27], v[70:71], -v[74:75]
	;; [unrolled: 1-line block ×3, first 2 shown]
	v_fmac_f64_e32 v[14:15], s[2:3], v[52:53]
	v_fmac_f64_e32 v[22:23], s[12:13], v[54:55]
	v_add_f64 v[26:27], v[26:27], v[56:57]
	v_fmac_f64_e32 v[14:15], s[0:1], v[54:55]
	v_fmac_f64_e32 v[22:23], s[8:9], v[26:27]
	;; [unrolled: 1-line block ×3, first 2 shown]
	v_add_f64 v[26:27], v[70:71], v[84:85]
	v_fmac_f64_e32 v[2:3], -0.5, v[26:27]
	v_fma_f64 v[26:27], s[2:3], v[54:55], v[2:3]
	v_fmac_f64_e32 v[2:3], s[10:11], v[54:55]
	v_fmac_f64_e32 v[26:27], s[12:13], v[52:53]
	;; [unrolled: 1-line block ×3, first 2 shown]
	v_add_f64 v[52:53], v[90:91], v[94:95]
	v_add_f64 v[56:57], v[74:75], -v[70:71]
	v_add_f64 v[50:51], v[50:51], -v[84:85]
	v_fma_f64 v[54:55], -0.5, v[52:53], v[4:5]
	v_add_f64 v[52:53], v[88:89], -v[100:101]
	v_add_f64 v[50:51], v[56:57], v[50:51]
	v_fma_f64 v[58:59], s[2:3], v[52:53], v[54:55]
	v_add_f64 v[56:57], v[92:93], -v[96:97]
	v_add_f64 v[60:61], v[86:87], -v[90:91]
	;; [unrolled: 1-line block ×3, first 2 shown]
	v_fmac_f64_e32 v[54:55], s[10:11], v[52:53]
	v_fmac_f64_e32 v[58:59], s[0:1], v[56:57]
	v_add_f64 v[60:61], v[60:61], v[62:63]
	v_fmac_f64_e32 v[54:55], s[12:13], v[56:57]
	v_fmac_f64_e32 v[58:59], s[8:9], v[60:61]
	;; [unrolled: 1-line block ×3, first 2 shown]
	v_add_f64 v[60:61], v[86:87], v[98:99]
	v_fmac_f64_e32 v[26:27], s[8:9], v[50:51]
	v_fmac_f64_e32 v[2:3], s[8:9], v[50:51]
	v_add_f64 v[50:51], v[4:5], v[86:87]
	v_fmac_f64_e32 v[4:5], -0.5, v[60:61]
	v_fma_f64 v[62:63], s[10:11], v[56:57], v[4:5]
	v_add_f64 v[60:61], v[90:91], -v[86:87]
	v_add_f64 v[64:65], v[94:95], -v[98:99]
	v_fmac_f64_e32 v[4:5], s[2:3], v[56:57]
	v_add_f64 v[56:57], v[92:93], v[96:97]
	v_fmac_f64_e32 v[62:63], s[0:1], v[52:53]
	v_add_f64 v[60:61], v[60:61], v[64:65]
	v_fmac_f64_e32 v[4:5], s[12:13], v[52:53]
	v_fma_f64 v[56:57], -0.5, v[56:57], v[6:7]
	v_add_f64 v[66:67], v[86:87], -v[98:99]
	v_fmac_f64_e32 v[62:63], s[8:9], v[60:61]
	v_fmac_f64_e32 v[4:5], s[8:9], v[60:61]
	v_fma_f64 v[60:61], s[10:11], v[66:67], v[56:57]
	v_add_f64 v[68:69], v[90:91], -v[94:95]
	v_add_f64 v[64:65], v[88:89], -v[92:93]
	v_add_f64 v[70:71], v[100:101], -v[96:97]
	v_fmac_f64_e32 v[56:57], s[2:3], v[66:67]
	v_fmac_f64_e32 v[60:61], s[12:13], v[68:69]
	v_add_f64 v[64:65], v[64:65], v[70:71]
	v_fmac_f64_e32 v[56:57], s[0:1], v[68:69]
	v_fmac_f64_e32 v[60:61], s[8:9], v[64:65]
	;; [unrolled: 1-line block ×3, first 2 shown]
	v_add_f64 v[64:65], v[88:89], v[100:101]
	v_add_f64 v[52:53], v[6:7], v[88:89]
	v_fmac_f64_e32 v[6:7], -0.5, v[64:65]
	v_fma_f64 v[64:65], s[2:3], v[68:69], v[6:7]
	v_add_f64 v[70:71], v[92:93], -v[88:89]
	v_add_f64 v[72:73], v[96:97], -v[100:101]
	v_fmac_f64_e32 v[6:7], s[10:11], v[68:69]
	v_fmac_f64_e32 v[64:65], s[12:13], v[66:67]
	v_add_f64 v[70:71], v[70:71], v[72:73]
	v_fmac_f64_e32 v[6:7], s[0:1], v[66:67]
	v_add_f64 v[68:69], v[44:45], v[46:47]
	v_fmac_f64_e32 v[64:65], s[8:9], v[70:71]
	v_fmac_f64_e32 v[6:7], s[8:9], v[70:71]
	v_fma_f64 v[70:71], -0.5, v[68:69], v[8:9]
	v_add_f64 v[68:69], v[34:35], -v[40:41]
	v_fma_f64 v[80:81], s[2:3], v[68:69], v[70:71]
	v_add_f64 v[72:73], v[36:37], -v[38:39]
	v_add_f64 v[74:75], v[42:43], -v[44:45]
	;; [unrolled: 1-line block ×3, first 2 shown]
	v_fmac_f64_e32 v[70:71], s[10:11], v[68:69]
	v_fmac_f64_e32 v[80:81], s[0:1], v[72:73]
	v_add_f64 v[74:75], v[74:75], v[82:83]
	v_fmac_f64_e32 v[70:71], s[12:13], v[72:73]
	v_fmac_f64_e32 v[80:81], s[8:9], v[74:75]
	;; [unrolled: 1-line block ×3, first 2 shown]
	v_add_f64 v[74:75], v[42:43], v[48:49]
	v_add_f64 v[66:67], v[8:9], v[42:43]
	v_fmac_f64_e32 v[8:9], -0.5, v[74:75]
	v_add_f64 v[66:67], v[66:67], v[44:45]
	v_fma_f64 v[84:85], s[10:11], v[72:73], v[8:9]
	v_fmac_f64_e32 v[8:9], s[2:3], v[72:73]
	v_add_f64 v[72:73], v[36:37], v[38:39]
	v_add_f64 v[66:67], v[66:67], v[46:47]
	v_add_f64 v[74:75], v[44:45], -v[42:43]
	v_add_f64 v[82:83], v[46:47], -v[48:49]
	v_fma_f64 v[72:73], -0.5, v[72:73], v[10:11]
	v_add_f64 v[42:43], v[42:43], -v[48:49]
	v_add_f64 v[66:67], v[66:67], v[48:49]
	v_add_f64 v[74:75], v[74:75], v[82:83]
	v_fma_f64 v[82:83], s[10:11], v[42:43], v[72:73]
	v_add_f64 v[44:45], v[44:45], -v[46:47]
	v_add_f64 v[46:47], v[34:35], -v[36:37]
	;; [unrolled: 1-line block ×3, first 2 shown]
	v_fmac_f64_e32 v[72:73], s[2:3], v[42:43]
	v_fmac_f64_e32 v[82:83], s[12:13], v[44:45]
	v_add_f64 v[46:47], v[46:47], v[48:49]
	v_fmac_f64_e32 v[72:73], s[0:1], v[44:45]
	v_fmac_f64_e32 v[84:85], s[0:1], v[68:69]
	;; [unrolled: 1-line block ×3, first 2 shown]
	v_add_f64 v[68:69], v[10:11], v[34:35]
	v_fmac_f64_e32 v[82:83], s[8:9], v[46:47]
	v_fmac_f64_e32 v[72:73], s[8:9], v[46:47]
	v_add_f64 v[46:47], v[34:35], v[40:41]
	v_add_f64 v[50:51], v[50:51], v[90:91]
	;; [unrolled: 1-line block ×4, first 2 shown]
	v_fmac_f64_e32 v[10:11], -0.5, v[46:47]
	v_add_f64 v[50:51], v[50:51], v[94:95]
	v_add_f64 v[52:53], v[52:53], v[96:97]
	;; [unrolled: 1-line block ×3, first 2 shown]
	v_fma_f64 v[86:87], s[2:3], v[44:45], v[10:11]
	v_add_f64 v[34:35], v[36:37], -v[34:35]
	v_add_f64 v[36:37], v[38:39], -v[40:41]
	v_fmac_f64_e32 v[10:11], s[10:11], v[44:45]
	v_add_f64 v[50:51], v[50:51], v[98:99]
	v_add_f64 v[52:53], v[52:53], v[100:101]
	;; [unrolled: 1-line block ×3, first 2 shown]
	v_fmac_f64_e32 v[86:87], s[12:13], v[42:43]
	v_add_f64 v[34:35], v[34:35], v[36:37]
	v_fmac_f64_e32 v[10:11], s[0:1], v[42:43]
	s_barrier
	ds_write_b128 v176, v[16:19]
	ds_write_b128 v176, v[20:23] offset:1456
	ds_write_b128 v176, v[24:27] offset:2912
	;; [unrolled: 1-line block ×9, first 2 shown]
	v_accvgpr_read_b32 v0, a148
	v_fmac_f64_e32 v[84:85], s[8:9], v[74:75]
	v_fmac_f64_e32 v[8:9], s[8:9], v[74:75]
	;; [unrolled: 1-line block ×4, first 2 shown]
	ds_write_b128 v0, v[66:69] offset:14560
	ds_write_b128 v0, v[80:83] offset:16016
	ds_write_b128 v0, v[84:87] offset:17472
	ds_write_b128 v0, v[8:11] offset:18928
	ds_write_b128 v0, v[70:73] offset:20384
	v_accvgpr_read_b32 v68, a150
	s_waitcnt lgkmcnt(0)
	s_barrier
	ds_read_b128 v[0:3], v176
	ds_read_b128 v[4:7], v176 offset:1456
	ds_read_b128 v[20:23], v176 offset:14560
	;; [unrolled: 1-line block ×14, first 2 shown]
	v_accvgpr_read_b32 v70, a152
	v_accvgpr_read_b32 v71, a153
	;; [unrolled: 1-line block ×3, first 2 shown]
	s_waitcnt lgkmcnt(4)
	v_mul_f64 v[66:67], v[70:71], v[52:53]
	v_fmac_f64_e32 v[66:67], v[68:69], v[50:51]
	v_mul_f64 v[50:51], v[70:71], v[50:51]
	v_fma_f64 v[50:51], v[68:69], v[52:53], -v[50:51]
	v_accvgpr_read_b32 v68, a154
	v_accvgpr_read_b32 v70, a156
	;; [unrolled: 1-line block ×4, first 2 shown]
	v_mul_f64 v[52:53], v[70:71], v[22:23]
	v_accvgpr_read_b32 v72, a158
	v_fmac_f64_e32 v[52:53], v[68:69], v[20:21]
	v_mul_f64 v[20:21], v[70:71], v[20:21]
	v_accvgpr_read_b32 v74, a160
	v_accvgpr_read_b32 v75, a161
	v_fma_f64 v[68:69], v[68:69], v[22:23], -v[20:21]
	v_accvgpr_read_b32 v73, a159
	v_mul_f64 v[70:71], v[74:75], v[36:37]
	v_mul_f64 v[20:21], v[74:75], v[34:35]
	v_fmac_f64_e32 v[70:71], v[72:73], v[34:35]
	v_fma_f64 v[72:73], v[72:73], v[36:37], -v[20:21]
	v_accvgpr_read_b32 v34, a162
	v_accvgpr_read_b32 v36, a164
	;; [unrolled: 1-line block ×4, first 2 shown]
	v_mul_f64 v[74:75], v[36:37], v[26:27]
	v_fmac_f64_e32 v[74:75], v[34:35], v[24:25]
	v_mul_f64 v[20:21], v[36:37], v[24:25]
	v_accvgpr_read_b32 v22, a166
	v_accvgpr_read_b32 v24, a168
	;; [unrolled: 1-line block ×3, first 2 shown]
	v_fma_f64 v[80:81], v[34:35], v[26:27], -v[20:21]
	v_accvgpr_read_b32 v23, a167
	v_mul_f64 v[82:83], v[24:25], v[40:41]
	v_mul_f64 v[20:21], v[24:25], v[38:39]
	v_fmac_f64_e32 v[82:83], v[22:23], v[38:39]
	v_fma_f64 v[84:85], v[22:23], v[40:41], -v[20:21]
	v_accvgpr_read_b32 v22, a170
	v_accvgpr_read_b32 v24, a172
	;; [unrolled: 1-line block ×4, first 2 shown]
	v_mul_f64 v[20:21], v[24:25], v[42:43]
	v_fma_f64 v[88:89], v[22:23], v[44:45], -v[20:21]
	s_waitcnt lgkmcnt(2)
	v_mul_f64 v[20:21], v[202:203], v[54:55]
	v_mul_f64 v[90:91], v[202:203], v[56:57]
	v_fma_f64 v[56:57], v[200:201], v[56:57], -v[20:21]
	v_mul_f64 v[20:21], v[206:207], v[46:47]
	v_mul_f64 v[86:87], v[24:25], v[44:45]
	v_fma_f64 v[94:95], v[204:205], v[48:49], -v[20:21]
	s_waitcnt lgkmcnt(1)
	v_mul_f64 v[20:21], v[210:211], v[58:59]
	v_fmac_f64_e32 v[86:87], v[22:23], v[42:43]
	v_fma_f64 v[98:99], v[208:209], v[60:61], -v[20:21]
	s_waitcnt lgkmcnt(0)
	v_mul_f64 v[20:21], v[214:215], v[62:63]
	v_add_f64 v[22:23], v[66:67], v[52:53]
	s_mov_b32 s0, 0xe8584caa
	v_mul_f64 v[100:101], v[214:215], v[64:65]
	v_fma_f64 v[64:65], v[212:213], v[64:65], -v[20:21]
	v_add_f64 v[20:21], v[0:1], v[66:67]
	v_fmac_f64_e32 v[0:1], -0.5, v[22:23]
	v_add_f64 v[22:23], v[50:51], -v[68:69]
	s_mov_b32 s1, 0xbfebb67a
	s_mov_b32 s3, 0x3febb67a
	;; [unrolled: 1-line block ×3, first 2 shown]
	v_add_f64 v[26:27], v[50:51], v[68:69]
	v_fma_f64 v[24:25], s[0:1], v[22:23], v[0:1]
	v_fmac_f64_e32 v[0:1], s[2:3], v[22:23]
	v_add_f64 v[22:23], v[2:3], v[50:51]
	v_fmac_f64_e32 v[2:3], -0.5, v[26:27]
	v_add_f64 v[34:35], v[66:67], -v[52:53]
	v_add_f64 v[36:37], v[70:71], v[74:75]
	v_fma_f64 v[26:27], s[2:3], v[34:35], v[2:3]
	v_fmac_f64_e32 v[2:3], s[0:1], v[34:35]
	v_add_f64 v[34:35], v[4:5], v[70:71]
	v_fmac_f64_e32 v[4:5], -0.5, v[36:37]
	v_add_f64 v[36:37], v[72:73], -v[80:81]
	v_add_f64 v[40:41], v[72:73], v[80:81]
	v_mul_f64 v[92:93], v[206:207], v[48:49]
	v_fma_f64 v[38:39], s[0:1], v[36:37], v[4:5]
	v_fmac_f64_e32 v[4:5], s[2:3], v[36:37]
	v_add_f64 v[36:37], v[6:7], v[72:73]
	v_fmac_f64_e32 v[6:7], -0.5, v[40:41]
	v_add_f64 v[42:43], v[70:71], -v[74:75]
	v_add_f64 v[44:45], v[82:83], v[86:87]
	v_fmac_f64_e32 v[90:91], v[200:201], v[54:55]
	v_fmac_f64_e32 v[92:93], v[204:205], v[46:47]
	v_fma_f64 v[40:41], s[2:3], v[42:43], v[6:7]
	v_fmac_f64_e32 v[6:7], s[0:1], v[42:43]
	v_add_f64 v[42:43], v[8:9], v[82:83]
	v_fmac_f64_e32 v[8:9], -0.5, v[44:45]
	v_add_f64 v[44:45], v[84:85], -v[88:89]
	v_add_f64 v[48:49], v[84:85], v[88:89]
	v_add_f64 v[20:21], v[20:21], v[52:53]
	v_fma_f64 v[46:47], s[0:1], v[44:45], v[8:9]
	v_fmac_f64_e32 v[8:9], s[2:3], v[44:45]
	v_add_f64 v[44:45], v[10:11], v[84:85]
	v_fmac_f64_e32 v[10:11], -0.5, v[48:49]
	v_add_f64 v[50:51], v[82:83], -v[86:87]
	v_add_f64 v[52:53], v[90:91], v[92:93]
	v_mul_f64 v[96:97], v[210:211], v[60:61]
	v_fma_f64 v[48:49], s[2:3], v[50:51], v[10:11]
	v_fmac_f64_e32 v[10:11], s[0:1], v[50:51]
	v_add_f64 v[50:51], v[12:13], v[90:91]
	v_fmac_f64_e32 v[12:13], -0.5, v[52:53]
	v_add_f64 v[52:53], v[56:57], -v[94:95]
	v_fmac_f64_e32 v[96:97], v[208:209], v[58:59]
	v_fmac_f64_e32 v[100:101], v[212:213], v[62:63]
	v_fma_f64 v[54:55], s[0:1], v[52:53], v[12:13]
	v_fmac_f64_e32 v[12:13], s[2:3], v[52:53]
	v_add_f64 v[52:53], v[14:15], v[56:57]
	v_add_f64 v[56:57], v[56:57], v[94:95]
	v_fmac_f64_e32 v[14:15], -0.5, v[56:57]
	v_add_f64 v[58:59], v[90:91], -v[92:93]
	v_add_f64 v[60:61], v[96:97], v[100:101]
	v_fma_f64 v[56:57], s[2:3], v[58:59], v[14:15]
	v_fmac_f64_e32 v[14:15], s[0:1], v[58:59]
	v_add_f64 v[58:59], v[16:17], v[96:97]
	v_fmac_f64_e32 v[16:17], -0.5, v[60:61]
	v_add_f64 v[60:61], v[98:99], -v[64:65]
	v_fma_f64 v[62:63], s[0:1], v[60:61], v[16:17]
	v_fmac_f64_e32 v[16:17], s[2:3], v[60:61]
	v_add_f64 v[60:61], v[18:19], v[98:99]
	v_add_f64 v[60:61], v[60:61], v[64:65]
	;; [unrolled: 1-line block ×4, first 2 shown]
	v_fmac_f64_e32 v[18:19], -0.5, v[64:65]
	v_add_f64 v[66:67], v[96:97], -v[100:101]
	v_add_f64 v[34:35], v[34:35], v[74:75]
	v_add_f64 v[36:37], v[36:37], v[80:81]
	;; [unrolled: 1-line block ×7, first 2 shown]
	v_fma_f64 v[64:65], s[2:3], v[66:67], v[18:19]
	v_fmac_f64_e32 v[18:19], s[0:1], v[66:67]
	ds_write_b128 v176, v[20:23]
	ds_write_b128 v177, v[24:27] offset:7280
	ds_write_b128 v177, v[0:3] offset:14560
	;; [unrolled: 1-line block ×14, first 2 shown]
	s_waitcnt lgkmcnt(0)
	s_barrier
	ds_read_b128 v[0:3], v176
	v_mov_b32_e32 v32, v31
	v_accvgpr_read_b32 v13, a9
	v_mad_u64_u32 v[4:5], s[0:1], s7, v102, v[32:33]
	v_accvgpr_read_b32 v12, a8
	v_mov_b32_e32 v31, v4
	ds_read_b128 v[4:7], v176 offset:1680
	v_accvgpr_read_b32 v11, a7
	v_accvgpr_read_b32 v10, a6
	s_waitcnt lgkmcnt(1)
	v_mul_f64 v[8:9], v[12:13], v[2:3]
	v_fmac_f64_e32 v[8:9], v[10:11], v[0:1]
	s_mov_b32 s0, 0x18018018
	v_mul_f64 v[0:1], v[12:13], v[0:1]
	s_mov_b32 s1, 0x3f480180
	v_fma_f64 v[0:1], v[10:11], v[2:3], -v[0:1]
	v_accvgpr_read_b32 v12, a2
	v_mul_f64 v[10:11], v[0:1], s[0:1]
	v_mad_u64_u32 v[0:1], s[2:3], s4, v12, 0
	v_mov_b32_e32 v2, v1
	v_mad_u64_u32 v[2:3], s[2:3], s5, v12, v[2:3]
	v_mov_b32_e32 v1, v2
	v_lshl_add_u64 v[2:3], v[30:31], 4, v[28:29]
	v_mul_f64 v[8:9], v[8:9], s[0:1]
	v_lshl_add_u64 v[12:13], v[0:1], 4, v[2:3]
	global_store_dwordx4 v[12:13], v[8:11], off
	s_mul_i32 s2, s5, 0x69
	s_mul_hi_u32 s3, s4, 0x69
	v_accvgpr_read_b32 v8, a22
	v_accvgpr_read_b32 v10, a24
	;; [unrolled: 1-line block ×4, first 2 shown]
	s_waitcnt lgkmcnt(0)
	v_mul_f64 v[0:1], v[10:11], v[6:7]
	v_mul_f64 v[2:3], v[10:11], v[4:5]
	v_fmac_f64_e32 v[0:1], v[8:9], v[4:5]
	v_fma_f64 v[2:3], v[8:9], v[6:7], -v[2:3]
	ds_read_b128 v[4:7], v176 offset:3360
	s_add_i32 s3, s3, s2
	s_mul_i32 s2, s4, 0x69
	s_lshl_b64 s[2:3], s[2:3], 4
	v_accvgpr_read_b32 v17, a13
	v_mul_f64 v[0:1], v[0:1], s[0:1]
	v_mul_f64 v[2:3], v[2:3], s[0:1]
	v_lshl_add_u64 v[12:13], v[12:13], 0, s[2:3]
	v_accvgpr_read_b32 v16, a12
	global_store_dwordx4 v[12:13], v[0:3], off
	ds_read_b128 v[0:3], v176 offset:5040
	v_accvgpr_read_b32 v15, a11
	v_accvgpr_read_b32 v14, a10
	s_waitcnt lgkmcnt(1)
	v_mul_f64 v[8:9], v[16:17], v[6:7]
	v_fmac_f64_e32 v[8:9], v[14:15], v[4:5]
	v_mul_f64 v[4:5], v[16:17], v[4:5]
	v_fma_f64 v[4:5], v[14:15], v[6:7], -v[4:5]
	v_mul_f64 v[8:9], v[8:9], s[0:1]
	v_mul_f64 v[10:11], v[4:5], s[0:1]
	v_lshl_add_u64 v[12:13], v[12:13], 0, s[2:3]
	global_store_dwordx4 v[12:13], v[8:11], off
	v_accvgpr_read_b32 v6, a54
	v_accvgpr_read_b32 v7, a55
	v_accvgpr_read_b32 v8, a56
	v_accvgpr_read_b32 v9, a57
	s_waitcnt lgkmcnt(0)
	v_mul_f64 v[4:5], v[8:9], v[2:3]
	v_fmac_f64_e32 v[4:5], v[6:7], v[0:1]
	v_mul_f64 v[0:1], v[8:9], v[0:1]
	v_fma_f64 v[6:7], v[6:7], v[2:3], -v[0:1]
	ds_read_b128 v[0:3], v176 offset:6720
	v_accvgpr_read_b32 v14, a14
	v_mul_f64 v[4:5], v[4:5], s[0:1]
	v_mul_f64 v[6:7], v[6:7], s[0:1]
	v_lshl_add_u64 v[12:13], v[12:13], 0, s[2:3]
	v_accvgpr_read_b32 v16, a16
	v_accvgpr_read_b32 v17, a17
	global_store_dwordx4 v[12:13], v[4:7], off
	ds_read_b128 v[4:7], v176 offset:8400
	v_accvgpr_read_b32 v15, a15
	s_waitcnt lgkmcnt(1)
	v_mul_f64 v[8:9], v[16:17], v[2:3]
	v_fmac_f64_e32 v[8:9], v[14:15], v[0:1]
	v_mul_f64 v[0:1], v[16:17], v[0:1]
	v_fma_f64 v[0:1], v[14:15], v[2:3], -v[0:1]
	v_mul_f64 v[8:9], v[8:9], s[0:1]
	v_mul_f64 v[10:11], v[0:1], s[0:1]
	v_lshl_add_u64 v[12:13], v[12:13], 0, s[2:3]
	global_store_dwordx4 v[12:13], v[8:11], off
	v_accvgpr_read_b32 v14, a18
	v_lshl_add_u64 v[12:13], v[12:13], 0, s[2:3]
	v_accvgpr_read_b32 v8, a30
	v_accvgpr_read_b32 v10, a32
	;; [unrolled: 1-line block ×4, first 2 shown]
	s_waitcnt lgkmcnt(0)
	v_mul_f64 v[0:1], v[10:11], v[6:7]
	v_mul_f64 v[2:3], v[10:11], v[4:5]
	v_fmac_f64_e32 v[0:1], v[8:9], v[4:5]
	v_fma_f64 v[2:3], v[8:9], v[6:7], -v[2:3]
	ds_read_b128 v[4:7], v176 offset:10080
	v_mul_f64 v[0:1], v[0:1], s[0:1]
	v_mul_f64 v[2:3], v[2:3], s[0:1]
	v_accvgpr_read_b32 v16, a20
	v_accvgpr_read_b32 v17, a21
	global_store_dwordx4 v[12:13], v[0:3], off
	ds_read_b128 v[0:3], v176 offset:11760
	v_accvgpr_read_b32 v15, a19
	s_waitcnt lgkmcnt(1)
	v_mul_f64 v[8:9], v[16:17], v[6:7]
	v_fmac_f64_e32 v[8:9], v[14:15], v[4:5]
	v_mul_f64 v[4:5], v[16:17], v[4:5]
	v_fma_f64 v[4:5], v[14:15], v[6:7], -v[4:5]
	v_mul_f64 v[8:9], v[8:9], s[0:1]
	v_mul_f64 v[10:11], v[4:5], s[0:1]
	v_lshl_add_u64 v[12:13], v[12:13], 0, s[2:3]
	global_store_dwordx4 v[12:13], v[8:11], off
	v_accvgpr_read_b32 v6, a26
	v_accvgpr_read_b32 v7, a27
	;; [unrolled: 1-line block ×4, first 2 shown]
	s_waitcnt lgkmcnt(0)
	v_mul_f64 v[4:5], v[8:9], v[2:3]
	v_fmac_f64_e32 v[4:5], v[6:7], v[0:1]
	v_mul_f64 v[0:1], v[8:9], v[0:1]
	v_fma_f64 v[6:7], v[6:7], v[2:3], -v[0:1]
	ds_read_b128 v[0:3], v176 offset:13440
	v_accvgpr_read_b32 v14, a50
	v_mul_f64 v[4:5], v[4:5], s[0:1]
	v_mul_f64 v[6:7], v[6:7], s[0:1]
	v_lshl_add_u64 v[12:13], v[12:13], 0, s[2:3]
	v_accvgpr_read_b32 v16, a52
	v_accvgpr_read_b32 v17, a53
	global_store_dwordx4 v[12:13], v[4:7], off
	ds_read_b128 v[4:7], v176 offset:15120
	v_accvgpr_read_b32 v15, a51
	s_waitcnt lgkmcnt(1)
	v_mul_f64 v[8:9], v[16:17], v[2:3]
	v_fmac_f64_e32 v[8:9], v[14:15], v[0:1]
	v_mul_f64 v[0:1], v[16:17], v[0:1]
	v_fma_f64 v[0:1], v[14:15], v[2:3], -v[0:1]
	v_mul_f64 v[8:9], v[8:9], s[0:1]
	v_mul_f64 v[10:11], v[0:1], s[0:1]
	v_lshl_add_u64 v[12:13], v[12:13], 0, s[2:3]
	global_store_dwordx4 v[12:13], v[8:11], off
	v_accvgpr_read_b32 v14, a34
	v_lshl_add_u64 v[12:13], v[12:13], 0, s[2:3]
	v_accvgpr_read_b32 v8, a42
	v_accvgpr_read_b32 v10, a44
	;; [unrolled: 1-line block ×4, first 2 shown]
	s_waitcnt lgkmcnt(0)
	v_mul_f64 v[0:1], v[10:11], v[6:7]
	v_mul_f64 v[2:3], v[10:11], v[4:5]
	v_fmac_f64_e32 v[0:1], v[8:9], v[4:5]
	v_fma_f64 v[2:3], v[8:9], v[6:7], -v[2:3]
	ds_read_b128 v[4:7], v176 offset:16800
	v_mul_f64 v[0:1], v[0:1], s[0:1]
	v_mul_f64 v[2:3], v[2:3], s[0:1]
	v_accvgpr_read_b32 v16, a36
	v_accvgpr_read_b32 v17, a37
	global_store_dwordx4 v[12:13], v[0:3], off
	ds_read_b128 v[0:3], v176 offset:18480
	v_accvgpr_read_b32 v15, a35
	s_waitcnt lgkmcnt(1)
	v_mul_f64 v[8:9], v[16:17], v[6:7]
	v_fmac_f64_e32 v[8:9], v[14:15], v[4:5]
	v_mul_f64 v[4:5], v[16:17], v[4:5]
	v_fma_f64 v[4:5], v[14:15], v[6:7], -v[4:5]
	v_mul_f64 v[8:9], v[8:9], s[0:1]
	v_mul_f64 v[10:11], v[4:5], s[0:1]
	v_lshl_add_u64 v[12:13], v[12:13], 0, s[2:3]
	global_store_dwordx4 v[12:13], v[8:11], off
	v_accvgpr_read_b32 v6, a38
	v_accvgpr_read_b32 v7, a39
	;; [unrolled: 1-line block ×4, first 2 shown]
	s_waitcnt lgkmcnt(0)
	v_mul_f64 v[4:5], v[8:9], v[2:3]
	v_fmac_f64_e32 v[4:5], v[6:7], v[0:1]
	v_mul_f64 v[0:1], v[8:9], v[0:1]
	ds_read_b128 v[8:11], v176 offset:20160
	v_fma_f64 v[0:1], v[6:7], v[2:3], -v[0:1]
	v_mul_f64 v[6:7], v[0:1], s[0:1]
	v_lshl_add_u64 v[0:1], v[12:13], 0, s[2:3]
	v_accvgpr_read_b32 v12, a46
	v_mul_f64 v[4:5], v[4:5], s[0:1]
	v_accvgpr_read_b32 v14, a48
	v_accvgpr_read_b32 v15, a49
	global_store_dwordx4 v[0:1], v[4:7], off
	v_accvgpr_read_b32 v13, a47
	s_waitcnt lgkmcnt(0)
	v_mul_f64 v[2:3], v[14:15], v[10:11]
	v_mul_f64 v[4:5], v[14:15], v[8:9]
	v_fmac_f64_e32 v[2:3], v[12:13], v[8:9]
	v_fma_f64 v[4:5], v[12:13], v[10:11], -v[4:5]
	v_mul_f64 v[2:3], v[2:3], s[0:1]
	v_mul_f64 v[4:5], v[4:5], s[0:1]
	v_lshl_add_u64 v[0:1], v[0:1], 0, s[2:3]
	global_store_dwordx4 v[0:1], v[2:5], off
	s_and_b64 exec, exec, vcc
	s_cbranch_execz .LBB0_23
; %bb.22:
	v_accvgpr_read_b32 v19, a1
	v_accvgpr_read_b32 v18, a0
	global_load_dwordx4 v[2:5], v[18:19], off offset:1456
	ds_read_b128 v[6:9], v177 offset:1456
	v_mov_b32_e32 v10, 0xffffb6f0
	s_mulk_i32 s5, 0xb6f0
	v_mad_u64_u32 v[12:13], s[6:7], s4, v10, v[0:1]
	s_sub_i32 s4, s5, s4
	v_add_u32_e32 v13, s4, v13
	s_movk_i32 s4, 0x1000
	v_add_co_u32_e32 v14, vcc, s4, v18
	s_movk_i32 s4, 0x2000
	s_nop 0
	v_addc_co_u32_e32 v15, vcc, 0, v19, vcc
	s_waitcnt vmcnt(0) lgkmcnt(0)
	v_mul_f64 v[0:1], v[8:9], v[4:5]
	v_mul_f64 v[4:5], v[6:7], v[4:5]
	v_fmac_f64_e32 v[0:1], v[6:7], v[2:3]
	v_fma_f64 v[2:3], v[2:3], v[8:9], -v[4:5]
	v_mul_f64 v[0:1], v[0:1], s[0:1]
	v_mul_f64 v[2:3], v[2:3], s[0:1]
	global_store_dwordx4 v[12:13], v[0:3], off
	global_load_dwordx4 v[0:3], v[18:19], off offset:3136
	ds_read_b128 v[4:7], v176 offset:3136
	ds_read_b128 v[8:11], v176 offset:4816
	v_lshl_add_u64 v[12:13], v[12:13], 0, s[2:3]
	s_waitcnt vmcnt(0) lgkmcnt(1)
	v_mul_f64 v[16:17], v[6:7], v[2:3]
	v_mul_f64 v[2:3], v[4:5], v[2:3]
	v_fmac_f64_e32 v[16:17], v[4:5], v[0:1]
	v_fma_f64 v[2:3], v[0:1], v[6:7], -v[2:3]
	v_mul_f64 v[0:1], v[16:17], s[0:1]
	v_mul_f64 v[2:3], v[2:3], s[0:1]
	global_store_dwordx4 v[12:13], v[0:3], off
	global_load_dwordx4 v[0:3], v[14:15], off offset:720
	v_lshl_add_u64 v[12:13], v[12:13], 0, s[2:3]
	s_waitcnt vmcnt(0) lgkmcnt(0)
	v_mul_f64 v[4:5], v[10:11], v[2:3]
	v_mul_f64 v[2:3], v[8:9], v[2:3]
	v_fmac_f64_e32 v[4:5], v[8:9], v[0:1]
	v_fma_f64 v[2:3], v[0:1], v[10:11], -v[2:3]
	v_mul_f64 v[0:1], v[4:5], s[0:1]
	v_mul_f64 v[2:3], v[2:3], s[0:1]
	global_store_dwordx4 v[12:13], v[0:3], off
	global_load_dwordx4 v[0:3], v[14:15], off offset:2400
	ds_read_b128 v[4:7], v176 offset:6496
	ds_read_b128 v[8:11], v176 offset:8176
	v_lshl_add_u64 v[12:13], v[12:13], 0, s[2:3]
	s_waitcnt vmcnt(0) lgkmcnt(1)
	v_mul_f64 v[16:17], v[6:7], v[2:3]
	v_mul_f64 v[2:3], v[4:5], v[2:3]
	v_fmac_f64_e32 v[16:17], v[4:5], v[0:1]
	v_fma_f64 v[2:3], v[0:1], v[6:7], -v[2:3]
	v_mul_f64 v[0:1], v[16:17], s[0:1]
	v_mul_f64 v[2:3], v[2:3], s[0:1]
	global_store_dwordx4 v[12:13], v[0:3], off
	global_load_dwordx4 v[0:3], v[14:15], off offset:4080
	v_add_co_u32_e32 v14, vcc, s4, v18
	v_lshl_add_u64 v[12:13], v[12:13], 0, s[2:3]
	s_nop 0
	v_addc_co_u32_e32 v15, vcc, 0, v19, vcc
	s_movk_i32 s4, 0x3000
	s_waitcnt vmcnt(0) lgkmcnt(0)
	v_mul_f64 v[4:5], v[10:11], v[2:3]
	v_mul_f64 v[2:3], v[8:9], v[2:3]
	v_fmac_f64_e32 v[4:5], v[8:9], v[0:1]
	v_fma_f64 v[2:3], v[0:1], v[10:11], -v[2:3]
	v_mul_f64 v[0:1], v[4:5], s[0:1]
	v_mul_f64 v[2:3], v[2:3], s[0:1]
	global_store_dwordx4 v[12:13], v[0:3], off
	global_load_dwordx4 v[0:3], v[14:15], off offset:1664
	ds_read_b128 v[4:7], v176 offset:9856
	ds_read_b128 v[8:11], v176 offset:11536
	v_lshl_add_u64 v[12:13], v[12:13], 0, s[2:3]
	s_waitcnt vmcnt(0) lgkmcnt(1)
	v_mul_f64 v[16:17], v[6:7], v[2:3]
	v_mul_f64 v[2:3], v[4:5], v[2:3]
	v_fmac_f64_e32 v[16:17], v[4:5], v[0:1]
	v_fma_f64 v[2:3], v[0:1], v[6:7], -v[2:3]
	v_mul_f64 v[0:1], v[16:17], s[0:1]
	v_mul_f64 v[2:3], v[2:3], s[0:1]
	global_store_dwordx4 v[12:13], v[0:3], off
	global_load_dwordx4 v[0:3], v[14:15], off offset:3344
	v_add_co_u32_e32 v14, vcc, s4, v18
	v_lshl_add_u64 v[12:13], v[12:13], 0, s[2:3]
	s_nop 0
	v_addc_co_u32_e32 v15, vcc, 0, v19, vcc
	s_movk_i32 s4, 0x4000
	;; [unrolled: 26-line block ×3, first 2 shown]
	s_waitcnt vmcnt(0) lgkmcnt(0)
	v_mul_f64 v[4:5], v[10:11], v[2:3]
	v_mul_f64 v[2:3], v[8:9], v[2:3]
	v_fmac_f64_e32 v[4:5], v[8:9], v[0:1]
	v_fma_f64 v[2:3], v[0:1], v[10:11], -v[2:3]
	v_mul_f64 v[0:1], v[4:5], s[0:1]
	v_mul_f64 v[2:3], v[2:3], s[0:1]
	global_store_dwordx4 v[12:13], v[0:3], off
	global_load_dwordx4 v[0:3], v[14:15], off offset:192
	ds_read_b128 v[4:7], v176 offset:16576
	ds_read_b128 v[8:11], v176 offset:18256
	v_lshl_add_u64 v[12:13], v[12:13], 0, s[2:3]
	s_waitcnt vmcnt(0) lgkmcnt(1)
	v_mul_f64 v[16:17], v[6:7], v[2:3]
	v_mul_f64 v[2:3], v[4:5], v[2:3]
	v_fmac_f64_e32 v[16:17], v[4:5], v[0:1]
	v_fma_f64 v[2:3], v[0:1], v[6:7], -v[2:3]
	v_mul_f64 v[0:1], v[16:17], s[0:1]
	v_mul_f64 v[2:3], v[2:3], s[0:1]
	global_store_dwordx4 v[12:13], v[0:3], off
	global_load_dwordx4 v[0:3], v[14:15], off offset:1872
	v_lshl_add_u64 v[12:13], v[12:13], 0, s[2:3]
	s_waitcnt vmcnt(0) lgkmcnt(0)
	v_mul_f64 v[4:5], v[10:11], v[2:3]
	v_mul_f64 v[2:3], v[8:9], v[2:3]
	v_fmac_f64_e32 v[4:5], v[8:9], v[0:1]
	v_fma_f64 v[2:3], v[0:1], v[10:11], -v[2:3]
	v_mul_f64 v[0:1], v[4:5], s[0:1]
	v_mul_f64 v[2:3], v[2:3], s[0:1]
	global_store_dwordx4 v[12:13], v[0:3], off
	global_load_dwordx4 v[0:3], v[14:15], off offset:3552
	ds_read_b128 v[4:7], v176 offset:19936
	ds_read_b128 v[8:11], v176 offset:21616
	v_add_co_u32_e32 v14, vcc, s4, v18
	v_lshl_add_u64 v[12:13], v[12:13], 0, s[2:3]
	s_nop 0
	v_addc_co_u32_e32 v15, vcc, 0, v19, vcc
	s_waitcnt vmcnt(0) lgkmcnt(1)
	v_mul_f64 v[16:17], v[6:7], v[2:3]
	v_mul_f64 v[2:3], v[4:5], v[2:3]
	v_fmac_f64_e32 v[16:17], v[4:5], v[0:1]
	v_fma_f64 v[2:3], v[0:1], v[6:7], -v[2:3]
	v_mul_f64 v[0:1], v[16:17], s[0:1]
	v_mul_f64 v[2:3], v[2:3], s[0:1]
	global_store_dwordx4 v[12:13], v[0:3], off
	global_load_dwordx4 v[0:3], v[14:15], off offset:1136
	s_waitcnt vmcnt(0) lgkmcnt(0)
	v_mul_f64 v[4:5], v[10:11], v[2:3]
	v_mul_f64 v[2:3], v[8:9], v[2:3]
	v_fmac_f64_e32 v[4:5], v[8:9], v[0:1]
	v_fma_f64 v[2:3], v[0:1], v[10:11], -v[2:3]
	v_mul_f64 v[0:1], v[4:5], s[0:1]
	v_mul_f64 v[2:3], v[2:3], s[0:1]
	v_lshl_add_u64 v[4:5], v[12:13], 0, s[2:3]
	global_store_dwordx4 v[4:5], v[0:3], off
.LBB0_23:
	s_endpgm
	.section	.rodata,"a",@progbits
	.p2align	6, 0x0
	.amdhsa_kernel bluestein_single_back_len1365_dim1_dp_op_CI_CI
		.amdhsa_group_segment_fixed_size 43680
		.amdhsa_private_segment_fixed_size 0
		.amdhsa_kernarg_size 104
		.amdhsa_user_sgpr_count 2
		.amdhsa_user_sgpr_dispatch_ptr 0
		.amdhsa_user_sgpr_queue_ptr 0
		.amdhsa_user_sgpr_kernarg_segment_ptr 1
		.amdhsa_user_sgpr_dispatch_id 0
		.amdhsa_user_sgpr_kernarg_preload_length 0
		.amdhsa_user_sgpr_kernarg_preload_offset 0
		.amdhsa_user_sgpr_private_segment_size 0
		.amdhsa_uses_dynamic_stack 0
		.amdhsa_enable_private_segment 0
		.amdhsa_system_sgpr_workgroup_id_x 1
		.amdhsa_system_sgpr_workgroup_id_y 0
		.amdhsa_system_sgpr_workgroup_id_z 0
		.amdhsa_system_sgpr_workgroup_info 0
		.amdhsa_system_vgpr_workitem_id 0
		.amdhsa_next_free_vgpr 494
		.amdhsa_next_free_sgpr 48
		.amdhsa_accum_offset 256
		.amdhsa_reserve_vcc 1
		.amdhsa_float_round_mode_32 0
		.amdhsa_float_round_mode_16_64 0
		.amdhsa_float_denorm_mode_32 3
		.amdhsa_float_denorm_mode_16_64 3
		.amdhsa_dx10_clamp 1
		.amdhsa_ieee_mode 1
		.amdhsa_fp16_overflow 0
		.amdhsa_tg_split 0
		.amdhsa_exception_fp_ieee_invalid_op 0
		.amdhsa_exception_fp_denorm_src 0
		.amdhsa_exception_fp_ieee_div_zero 0
		.amdhsa_exception_fp_ieee_overflow 0
		.amdhsa_exception_fp_ieee_underflow 0
		.amdhsa_exception_fp_ieee_inexact 0
		.amdhsa_exception_int_div_zero 0
	.end_amdhsa_kernel
	.text
.Lfunc_end0:
	.size	bluestein_single_back_len1365_dim1_dp_op_CI_CI, .Lfunc_end0-bluestein_single_back_len1365_dim1_dp_op_CI_CI
                                        ; -- End function
	.section	.AMDGPU.csdata,"",@progbits
; Kernel info:
; codeLenInByte = 36748
; NumSgprs: 54
; NumVgprs: 256
; NumAgprs: 238
; TotalNumVgprs: 494
; ScratchSize: 0
; MemoryBound: 0
; FloatMode: 240
; IeeeMode: 1
; LDSByteSize: 43680 bytes/workgroup (compile time only)
; SGPRBlocks: 6
; VGPRBlocks: 61
; NumSGPRsForWavesPerEU: 54
; NumVGPRsForWavesPerEU: 494
; AccumOffset: 256
; Occupancy: 1
; WaveLimiterHint : 1
; COMPUTE_PGM_RSRC2:SCRATCH_EN: 0
; COMPUTE_PGM_RSRC2:USER_SGPR: 2
; COMPUTE_PGM_RSRC2:TRAP_HANDLER: 0
; COMPUTE_PGM_RSRC2:TGID_X_EN: 1
; COMPUTE_PGM_RSRC2:TGID_Y_EN: 0
; COMPUTE_PGM_RSRC2:TGID_Z_EN: 0
; COMPUTE_PGM_RSRC2:TIDIG_COMP_CNT: 0
; COMPUTE_PGM_RSRC3_GFX90A:ACCUM_OFFSET: 63
; COMPUTE_PGM_RSRC3_GFX90A:TG_SPLIT: 0
	.text
	.p2alignl 6, 3212836864
	.fill 256, 4, 3212836864
	.type	__hip_cuid_60b423f22c482a2a,@object ; @__hip_cuid_60b423f22c482a2a
	.section	.bss,"aw",@nobits
	.globl	__hip_cuid_60b423f22c482a2a
__hip_cuid_60b423f22c482a2a:
	.byte	0                               ; 0x0
	.size	__hip_cuid_60b423f22c482a2a, 1

	.ident	"AMD clang version 19.0.0git (https://github.com/RadeonOpenCompute/llvm-project roc-6.4.0 25133 c7fe45cf4b819c5991fe208aaa96edf142730f1d)"
	.section	".note.GNU-stack","",@progbits
	.addrsig
	.addrsig_sym __hip_cuid_60b423f22c482a2a
	.amdgpu_metadata
---
amdhsa.kernels:
  - .agpr_count:     238
    .args:
      - .actual_access:  read_only
        .address_space:  global
        .offset:         0
        .size:           8
        .value_kind:     global_buffer
      - .actual_access:  read_only
        .address_space:  global
        .offset:         8
        .size:           8
        .value_kind:     global_buffer
      - .actual_access:  read_only
        .address_space:  global
        .offset:         16
        .size:           8
        .value_kind:     global_buffer
      - .actual_access:  read_only
        .address_space:  global
        .offset:         24
        .size:           8
        .value_kind:     global_buffer
      - .actual_access:  read_only
        .address_space:  global
        .offset:         32
        .size:           8
        .value_kind:     global_buffer
      - .offset:         40
        .size:           8
        .value_kind:     by_value
      - .address_space:  global
        .offset:         48
        .size:           8
        .value_kind:     global_buffer
      - .address_space:  global
        .offset:         56
        .size:           8
        .value_kind:     global_buffer
      - .address_space:  global
        .offset:         64
        .size:           8
        .value_kind:     global_buffer
      - .address_space:  global
        .offset:         72
        .size:           8
        .value_kind:     global_buffer
      - .offset:         80
        .size:           4
        .value_kind:     by_value
      - .address_space:  global
        .offset:         88
        .size:           8
        .value_kind:     global_buffer
      - .address_space:  global
        .offset:         96
        .size:           8
        .value_kind:     global_buffer
    .group_segment_fixed_size: 43680
    .kernarg_segment_align: 8
    .kernarg_segment_size: 104
    .language:       OpenCL C
    .language_version:
      - 2
      - 0
    .max_flat_workgroup_size: 182
    .name:           bluestein_single_back_len1365_dim1_dp_op_CI_CI
    .private_segment_fixed_size: 0
    .sgpr_count:     54
    .sgpr_spill_count: 0
    .symbol:         bluestein_single_back_len1365_dim1_dp_op_CI_CI.kd
    .uniform_work_group_size: 1
    .uses_dynamic_stack: false
    .vgpr_count:     494
    .vgpr_spill_count: 0
    .wavefront_size: 64
amdhsa.target:   amdgcn-amd-amdhsa--gfx950
amdhsa.version:
  - 1
  - 2
...

	.end_amdgpu_metadata
